;; amdgpu-corpus repo=zjin-lcf/HeCBench kind=compiled arch=gfx906 opt=O3
	.amdgcn_target "amdgcn-amd-amdhsa--gfx906"
	.amdhsa_code_object_version 6
	.text
	.protected	_Z6init_xPfii           ; -- Begin function _Z6init_xPfii
	.globl	_Z6init_xPfii
	.p2align	8
	.type	_Z6init_xPfii,@function
_Z6init_xPfii:                          ; @_Z6init_xPfii
; %bb.0:
	s_load_dword s2, s[4:5], 0x1c
	s_load_dwordx2 s[0:1], s[4:5], 0x8
	s_waitcnt lgkmcnt(0)
	s_and_b32 s2, s2, 0xffff
	s_mul_i32 s6, s6, s2
	v_add_u32_e32 v0, s6, v0
	s_mul_i32 s0, s1, s0
	v_cmp_gt_i32_e32 vcc, s0, v0
	s_and_saveexec_b64 s[2:3], vcc
	s_cbranch_execz .LBB0_2
; %bb.1:
	s_abs_i32 s2, s1
	v_cvt_f32_u32_e32 v1, s2
	s_sub_i32 s0, 0, s2
	v_sub_u32_e32 v3, 0, v0
	v_max_i32_e32 v4, v0, v3
	v_rcp_iflag_f32_e32 v1, v1
	v_mul_f32_e32 v1, 0x4f7ffffe, v1
	v_cvt_u32_f32_e32 v1, v1
	v_mul_lo_u32 v2, s0, v1
	s_load_dwordx2 s[0:1], s[4:5], 0x0
	v_mul_hi_u32 v2, v1, v2
	s_waitcnt lgkmcnt(0)
	v_mov_b32_e32 v6, s1
	v_add_u32_e32 v1, v1, v2
	v_mul_hi_u32 v1, v4, v1
	v_mul_lo_u32 v5, v1, s2
	v_ashrrev_i32_e32 v1, 31, v0
	v_lshlrev_b64 v[2:3], 2, v[0:1]
	v_sub_u32_e32 v0, v4, v5
	v_subrev_u32_e32 v4, s2, v0
	v_cmp_le_u32_e32 vcc, s2, v0
	v_cndmask_b32_e32 v0, v0, v4, vcc
	v_subrev_u32_e32 v4, s2, v0
	v_cmp_le_u32_e32 vcc, s2, v0
	v_cndmask_b32_e32 v0, v0, v4, vcc
	v_xor_b32_e32 v0, v0, v1
	v_sub_u32_e32 v0, v0, v1
	v_cvt_f32_i32_e32 v4, v0
	v_add_co_u32_e32 v0, vcc, s0, v2
	v_addc_co_u32_e32 v1, vcc, v6, v3, vcc
	global_store_dword v[0:1], v4, off
.LBB0_2:
	s_endpgm
	.section	.rodata,"a",@progbits
	.p2align	6, 0x0
	.amdhsa_kernel _Z6init_xPfii
		.amdhsa_group_segment_fixed_size 0
		.amdhsa_private_segment_fixed_size 0
		.amdhsa_kernarg_size 272
		.amdhsa_user_sgpr_count 6
		.amdhsa_user_sgpr_private_segment_buffer 1
		.amdhsa_user_sgpr_dispatch_ptr 0
		.amdhsa_user_sgpr_queue_ptr 0
		.amdhsa_user_sgpr_kernarg_segment_ptr 1
		.amdhsa_user_sgpr_dispatch_id 0
		.amdhsa_user_sgpr_flat_scratch_init 0
		.amdhsa_user_sgpr_private_segment_size 0
		.amdhsa_uses_dynamic_stack 0
		.amdhsa_system_sgpr_private_segment_wavefront_offset 0
		.amdhsa_system_sgpr_workgroup_id_x 1
		.amdhsa_system_sgpr_workgroup_id_y 0
		.amdhsa_system_sgpr_workgroup_id_z 0
		.amdhsa_system_sgpr_workgroup_info 0
		.amdhsa_system_vgpr_workitem_id 0
		.amdhsa_next_free_vgpr 7
		.amdhsa_next_free_sgpr 7
		.amdhsa_reserve_vcc 1
		.amdhsa_reserve_flat_scratch 0
		.amdhsa_float_round_mode_32 0
		.amdhsa_float_round_mode_16_64 0
		.amdhsa_float_denorm_mode_32 3
		.amdhsa_float_denorm_mode_16_64 3
		.amdhsa_dx10_clamp 1
		.amdhsa_ieee_mode 1
		.amdhsa_fp16_overflow 0
		.amdhsa_exception_fp_ieee_invalid_op 0
		.amdhsa_exception_fp_denorm_src 0
		.amdhsa_exception_fp_ieee_div_zero 0
		.amdhsa_exception_fp_ieee_overflow 0
		.amdhsa_exception_fp_ieee_underflow 0
		.amdhsa_exception_fp_ieee_inexact 0
		.amdhsa_exception_int_div_zero 0
	.end_amdhsa_kernel
	.text
.Lfunc_end0:
	.size	_Z6init_xPfii, .Lfunc_end0-_Z6init_xPfii
                                        ; -- End function
	.set _Z6init_xPfii.num_vgpr, 7
	.set _Z6init_xPfii.num_agpr, 0
	.set _Z6init_xPfii.numbered_sgpr, 7
	.set _Z6init_xPfii.num_named_barrier, 0
	.set _Z6init_xPfii.private_seg_size, 0
	.set _Z6init_xPfii.uses_vcc, 1
	.set _Z6init_xPfii.uses_flat_scratch, 0
	.set _Z6init_xPfii.has_dyn_sized_stack, 0
	.set _Z6init_xPfii.has_recursion, 0
	.set _Z6init_xPfii.has_indirect_call, 0
	.section	.AMDGPU.csdata,"",@progbits
; Kernel info:
; codeLenInByte = 212
; TotalNumSgprs: 11
; NumVgprs: 7
; ScratchSize: 0
; MemoryBound: 0
; FloatMode: 240
; IeeeMode: 1
; LDSByteSize: 0 bytes/workgroup (compile time only)
; SGPRBlocks: 1
; VGPRBlocks: 1
; NumSGPRsForWavesPerEU: 11
; NumVGPRsForWavesPerEU: 7
; Occupancy: 10
; WaveLimiterHint : 0
; COMPUTE_PGM_RSRC2:SCRATCH_EN: 0
; COMPUTE_PGM_RSRC2:USER_SGPR: 6
; COMPUTE_PGM_RSRC2:TRAP_HANDLER: 0
; COMPUTE_PGM_RSRC2:TGID_X_EN: 1
; COMPUTE_PGM_RSRC2:TGID_Y_EN: 0
; COMPUTE_PGM_RSRC2:TGID_Z_EN: 0
; COMPUTE_PGM_RSRC2:TIDIG_COMP_CNT: 0
	.text
	.protected	_Z12shuffle_rowsPfiij   ; -- Begin function _Z12shuffle_rowsPfiij
	.globl	_Z12shuffle_rowsPfiij
	.p2align	8
	.type	_Z12shuffle_rowsPfiij,@function
_Z12shuffle_rowsPfiij:                  ; @_Z12shuffle_rowsPfiij
; %bb.0:
	s_load_dwordx4 s[0:3], s[4:5], 0x8
	s_waitcnt lgkmcnt(0)
	s_cmp_ge_i32 s6, s0
	s_cbranch_scc1 .LBB1_4
; %bb.1:
	s_cmp_lt_i32 s1, 2
	s_cbranch_scc1 .LBB1_4
; %bb.2:
	s_load_dwordx2 s[4:5], s[4:5], 0x0
	s_mul_i32 s8, s1, s6
	s_ashr_i32 s9, s8, 31
	s_lshl_b64 s[10:11], s[8:9], 2
	s_mov_b32 s3, 0
	s_waitcnt lgkmcnt(0)
	s_add_u32 s0, s4, s10
	s_addc_u32 s7, s5, s11
	s_xor_b32 s8, s2, s6
	s_add_i32 s2, s1, -1
	s_sub_i32 s6, 0, s1
	s_lshl_b64 s[12:13], s[2:3], 2
	s_add_u32 s2, s10, s12
	s_addc_u32 s9, s11, s13
	s_add_u32 s4, s4, s2
	s_addc_u32 s5, s5, s9
	v_mov_b32_e32 v0, 0
.LBB1_3:                                ; =>This Inner Loop Header: Depth=1
	v_cvt_f32_u32_e32 v1, s1
	s_lshl_b32 s2, s8, 13
	s_xor_b32 s2, s2, s8
	s_lshr_b32 s8, s2, 17
	v_rcp_iflag_f32_e32 v1, v1
	s_xor_b32 s2, s8, s2
	s_lshl_b32 s8, s2, 5
	s_xor_b32 s8, s8, s2
	v_mul_f32_e32 v1, 0x4f7ffffe, v1
	v_cvt_u32_f32_e32 v1, v1
	s_add_i32 s9, s1, -1
	v_readfirstlane_b32 s2, v1
	s_mul_i32 s10, s6, s2
	s_mul_hi_u32 s10, s2, s10
	s_add_i32 s2, s2, s10
	s_mul_hi_u32 s2, s8, s2
	s_mul_i32 s2, s2, s1
	s_sub_i32 s2, s8, s2
	s_sub_i32 s10, s2, s1
	s_cmp_ge_u32 s2, s1
	s_cselect_b32 s2, s10, s2
	s_add_i32 s10, s2, s6
	s_cmp_ge_u32 s2, s1
	s_cselect_b32 s2, s10, s2
	s_lshl_b64 s[10:11], s[2:3], 2
	s_add_u32 s10, s0, s10
	s_addc_u32 s11, s7, s11
	global_load_dword v1, v0, s[10:11]
	global_load_dword v2, v0, s[4:5]
	s_add_i32 s6, s6, 1
	s_waitcnt vmcnt(1)
	global_store_dword v0, v1, s[4:5]
	s_waitcnt vmcnt(1)
	global_store_dword v0, v2, s[10:11]
	s_add_u32 s4, s4, -4
	s_addc_u32 s5, s5, -1
	s_cmp_gt_u32 s1, 2
	s_mov_b32 s1, s9
	s_cbranch_scc1 .LBB1_3
.LBB1_4:
	s_endpgm
	.section	.rodata,"a",@progbits
	.p2align	6, 0x0
	.amdhsa_kernel _Z12shuffle_rowsPfiij
		.amdhsa_group_segment_fixed_size 0
		.amdhsa_private_segment_fixed_size 0
		.amdhsa_kernarg_size 20
		.amdhsa_user_sgpr_count 6
		.amdhsa_user_sgpr_private_segment_buffer 1
		.amdhsa_user_sgpr_dispatch_ptr 0
		.amdhsa_user_sgpr_queue_ptr 0
		.amdhsa_user_sgpr_kernarg_segment_ptr 1
		.amdhsa_user_sgpr_dispatch_id 0
		.amdhsa_user_sgpr_flat_scratch_init 0
		.amdhsa_user_sgpr_private_segment_size 0
		.amdhsa_uses_dynamic_stack 0
		.amdhsa_system_sgpr_private_segment_wavefront_offset 0
		.amdhsa_system_sgpr_workgroup_id_x 1
		.amdhsa_system_sgpr_workgroup_id_y 0
		.amdhsa_system_sgpr_workgroup_id_z 0
		.amdhsa_system_sgpr_workgroup_info 0
		.amdhsa_system_vgpr_workitem_id 0
		.amdhsa_next_free_vgpr 3
		.amdhsa_next_free_sgpr 14
		.amdhsa_reserve_vcc 0
		.amdhsa_reserve_flat_scratch 0
		.amdhsa_float_round_mode_32 0
		.amdhsa_float_round_mode_16_64 0
		.amdhsa_float_denorm_mode_32 3
		.amdhsa_float_denorm_mode_16_64 3
		.amdhsa_dx10_clamp 1
		.amdhsa_ieee_mode 1
		.amdhsa_fp16_overflow 0
		.amdhsa_exception_fp_ieee_invalid_op 0
		.amdhsa_exception_fp_denorm_src 0
		.amdhsa_exception_fp_ieee_div_zero 0
		.amdhsa_exception_fp_ieee_overflow 0
		.amdhsa_exception_fp_ieee_underflow 0
		.amdhsa_exception_fp_ieee_inexact 0
		.amdhsa_exception_int_div_zero 0
	.end_amdhsa_kernel
	.text
.Lfunc_end1:
	.size	_Z12shuffle_rowsPfiij, .Lfunc_end1-_Z12shuffle_rowsPfiij
                                        ; -- End function
	.set _Z12shuffle_rowsPfiij.num_vgpr, 3
	.set _Z12shuffle_rowsPfiij.num_agpr, 0
	.set _Z12shuffle_rowsPfiij.numbered_sgpr, 14
	.set _Z12shuffle_rowsPfiij.num_named_barrier, 0
	.set _Z12shuffle_rowsPfiij.private_seg_size, 0
	.set _Z12shuffle_rowsPfiij.uses_vcc, 0
	.set _Z12shuffle_rowsPfiij.uses_flat_scratch, 0
	.set _Z12shuffle_rowsPfiij.has_dyn_sized_stack, 0
	.set _Z12shuffle_rowsPfiij.has_recursion, 0
	.set _Z12shuffle_rowsPfiij.has_indirect_call, 0
	.section	.AMDGPU.csdata,"",@progbits
; Kernel info:
; codeLenInByte = 280
; TotalNumSgprs: 18
; NumVgprs: 3
; ScratchSize: 0
; MemoryBound: 0
; FloatMode: 240
; IeeeMode: 1
; LDSByteSize: 0 bytes/workgroup (compile time only)
; SGPRBlocks: 2
; VGPRBlocks: 0
; NumSGPRsForWavesPerEU: 18
; NumVGPRsForWavesPerEU: 3
; Occupancy: 10
; WaveLimiterHint : 0
; COMPUTE_PGM_RSRC2:SCRATCH_EN: 0
; COMPUTE_PGM_RSRC2:USER_SGPR: 6
; COMPUTE_PGM_RSRC2:TRAP_HANDLER: 0
; COMPUTE_PGM_RSRC2:TGID_X_EN: 1
; COMPUTE_PGM_RSRC2:TGID_Y_EN: 0
; COMPUTE_PGM_RSRC2:TGID_Z_EN: 0
; COMPUTE_PGM_RSRC2:TIDIG_COMP_CNT: 0
	.section	.text._Z27radix_topk_one_block_kernelIfiLi11ELi1024ELb1ELb0EL5Phase0EEvPKT_PKT0_lS6_S6_S4_PS1_PS4_bPci,"axG",@progbits,_Z27radix_topk_one_block_kernelIfiLi11ELi1024ELb1ELb0EL5Phase0EEvPKT_PKT0_lS6_S6_S4_PS1_PS4_bPci,comdat
	.protected	_Z27radix_topk_one_block_kernelIfiLi11ELi1024ELb1ELb0EL5Phase0EEvPKT_PKT0_lS6_S6_S4_PS1_PS4_bPci ; -- Begin function _Z27radix_topk_one_block_kernelIfiLi11ELi1024ELb1ELb0EL5Phase0EEvPKT_PKT0_lS6_S6_S4_PS1_PS4_bPci
	.globl	_Z27radix_topk_one_block_kernelIfiLi11ELi1024ELb1ELb0EL5Phase0EEvPKT_PKT0_lS6_S6_S4_PS1_PS4_bPci
	.p2align	8
	.type	_Z27radix_topk_one_block_kernelIfiLi11ELi1024ELb1ELb0EL5Phase0EEvPKT_PKT0_lS6_S6_S4_PS1_PS4_bPci,@function
_Z27radix_topk_one_block_kernelIfiLi11ELi1024ELb1ELb0EL5Phase0EEvPKT_PKT0_lS6_S6_S4_PS1_PS4_bPci: ; @_Z27radix_topk_one_block_kernelIfiLi11ELi1024ELb1ELb0EL5Phase0EEvPKT_PKT0_lS6_S6_S4_PS1_PS4_bPci
; %bb.0:
	s_load_dwordx8 s[8:15], s[4:5], 0x0
	s_load_dwordx2 s[0:1], s[4:5], 0x20
	s_mov_b32 s7, 0
	s_waitcnt lgkmcnt(0)
	s_cmp_eq_u64 s[14:15], 0
	s_cselect_b64 s[2:3], -1, 0
	s_cmp_eq_u64 s[0:1], 0
	s_cselect_b64 s[16:17], -1, 0
	s_or_b64 s[2:3], s[2:3], s[16:17]
	s_and_b64 vcc, exec, s[2:3]
	s_mov_b32 s2, s12
	s_cbranch_vccnz .LBB2_2
; %bb.1:
	s_lshl_b64 s[2:3], s[6:7], 2
	s_add_u32 s0, s0, s2
	s_addc_u32 s1, s1, s3
	s_add_u32 s14, s14, s2
	s_addc_u32 s15, s15, s3
	s_load_dword s7, s[14:15], 0x0
	s_load_dword s2, s[0:1], 0x0
.LBB2_2:
	s_load_dword s33, s[4:5], 0x28
	s_waitcnt lgkmcnt(0)
	s_sub_i32 s55, s2, s7
	v_cmp_ne_u32_e64 s[0:1], 0, v0
	v_cmp_eq_u32_e64 s[2:3], 0, v0
	s_and_saveexec_b64 s[14:15], s[2:3]
	s_cbranch_execz .LBB2_4
; %bb.3:
	v_mov_b32_e32 v4, 0
	v_mov_b32_e32 v1, s33
	v_mov_b32_e32 v2, s55
	v_mov_b32_e32 v3, s55
	ds_write_b128 v4, v[1:4]
	ds_write2_b32 v4, v4, v4 offset0:96 offset1:128
.LBB2_4:
	s_or_b64 exec, exec, s[14:15]
	s_mul_i32 s13, s13, s6
	s_mul_hi_u32 s14, s12, s6
	s_add_i32 s15, s14, s13
	s_mul_i32 s14, s12, s6
	s_lshl_b64 s[22:23], s[14:15], 2
	s_load_dwordx4 s[16:19], s[4:5], 0x30
	s_add_u32 s14, s8, s22
	s_addc_u32 s15, s9, s23
	s_ashr_i32 s8, s33, 31
	s_mul_hi_u32 s9, s33, s6
	s_mul_i32 s8, s8, s6
	s_add_i32 s25, s9, s8
	s_mul_i32 s24, s33, s6
	s_cmp_gt_i32 s55, s33
	s_mov_b64 s[8:9], -1
	s_waitcnt lgkmcnt(0)
	s_barrier
	s_cbranch_scc1 .LBB2_11
; %bb.5:
	v_cmp_gt_i32_e32 vcc, s33, v0
	s_and_saveexec_b64 s[20:21], vcc
	s_cbranch_execz .LBB2_10
; %bb.6:
	s_lshl_b64 s[8:9], s[24:25], 2
	v_lshlrev_b32_e32 v1, 2, v0
	v_mov_b32_e32 v2, s9
	v_add_co_u32_e32 v3, vcc, s8, v1
	v_addc_co_u32_e32 v4, vcc, 0, v2, vcc
	v_mov_b32_e32 v2, s19
	v_add_co_u32_e32 v1, vcc, s18, v3
	v_addc_co_u32_e32 v2, vcc, v2, v4, vcc
	;; [unrolled: 3-line block ×3, first 2 shown]
	s_mov_b64 s[26:27], 0
	v_mov_b32_e32 v7, v0
	s_branch .LBB2_8
.LBB2_7:                                ;   in Loop: Header=BB2_8 Depth=1
	s_or_b64 exec, exec, s[8:9]
	v_add_co_u32_e32 v1, vcc, 0x1000, v1
	v_add_u32_e32 v7, 0x400, v7
	v_addc_co_u32_e32 v2, vcc, 0, v2, vcc
	s_waitcnt vmcnt(0)
	global_store_dword v[3:4], v6, off
	v_add_co_u32_e32 v3, vcc, 0x1000, v3
	v_cmp_le_i32_e64 s[8:9], s33, v7
	s_or_b64 s[26:27], s[8:9], s[26:27]
	v_addc_co_u32_e32 v4, vcc, 0, v4, vcc
	s_andn2_b64 exec, exec, s[26:27]
	s_cbranch_execz .LBB2_10
.LBB2_8:                                ; =>This Inner Loop Header: Depth=1
	v_add_u32_e32 v5, s7, v7
	v_cmp_gt_i32_e32 vcc, s55, v7
	v_cndmask_b32_e32 v6, -1, v5, vcc
	global_store_dword v[1:2], v6, off
	v_mov_b32_e32 v6, 0
	s_and_saveexec_b64 s[8:9], vcc
	s_cbranch_execz .LBB2_7
; %bb.9:                                ;   in Loop: Header=BB2_8 Depth=1
	v_ashrrev_i32_e32 v6, 31, v5
	v_lshlrev_b64 v[5:6], 2, v[5:6]
	v_mov_b32_e32 v8, s15
	v_add_co_u32_e32 v5, vcc, s14, v5
	v_addc_co_u32_e32 v6, vcc, v8, v6, vcc
	global_load_dword v6, v[5:6], off
	s_branch .LBB2_7
.LBB2_10:
	s_or_b64 exec, exec, s[20:21]
	s_mov_b64 s[8:9], 0
.LBB2_11:
	s_andn2_b64 vcc, exec, s[8:9]
	s_cbranch_vccnz .LBB2_211
; %bb.12:
	s_lshl_b64 s[8:9], s[24:25], 2
	s_add_u32 s50, s16, s8
	s_addc_u32 s51, s17, s9
	s_add_u32 s52, s18, s8
	s_addc_u32 s53, s19, s9
	;; [unrolled: 2-line block ×3, first 2 shown]
	s_cmp_lg_u64 s[10:11], 0
	s_load_dwordx2 s[10:11], s[4:5], 0x48
	s_mov_b64 s[20:21], src_shared_base
	s_cselect_b32 s9, s8, 0
	s_cselect_b32 s8, s7, 0
	s_lshr_b32 s7, s12, 5
	s_load_dword s12, s[4:5], 0x64
	s_and_b32 s20, s7, 0x7ffffc0
	s_mul_hi_u32 s7, s6, s20
	s_mul_i32 s6, s6, s20
	s_lshl_b64 s[4:5], s[6:7], 4
	v_lshrrev_b32_e32 v1, 3, v0
	s_waitcnt lgkmcnt(0)
	s_add_u32 s22, s10, s4
	v_and_b32_e32 v1, 0x7c, v1
	v_lshlrev_b32_e32 v2, 2, v0
	s_movk_i32 s6, 0x4280
	s_addc_u32 s23, s11, s5
	s_and_b32 s54, s12, 0xffff
	v_add3_u32 v7, v2, v1, s6
	v_or_b32_e32 v1, 0x400, v0
	s_lshl_b32 s7, s20, 3
	v_lshrrev_b32_e32 v1, 3, v1
	s_add_u32 s24, s22, s7
	v_and_b32_e32 v1, 0xfc, v1
	s_addc_u32 s25, s23, 0
	s_lshl_b32 s7, s20, 2
	v_add3_u32 v8, v1, v2, s6
	v_lshrrev_b32_e32 v1, 4, v0
	v_mov_b32_e32 v3, 0x4280
	s_sub_u32 s10, 0, s7
	v_mov_b32_e32 v5, 0x6380
	v_lshl_add_u32 v3, v1, 2, v3
	s_subb_u32 s11, 0, 0
	v_and_or_b32 v10, v1, 60, v5
	v_lshlrev_b32_e32 v1, 1, v0
	s_add_u32 s26, s24, s10
	v_and_b32_e32 v1, 0x7fc, v1
	v_add_u32_e32 v6, -1, v0
	s_addc_u32 s27, s25, s11
	v_add_u32_e32 v1, 0x4280, v1
	v_lshlrev_b32_e32 v5, 6, v0
	v_lshrrev_b32_e32 v11, 3, v6
	v_lshlrev_b32_e32 v4, 3, v0
	s_add_u32 s28, s24, s7
	v_and_b32_e32 v11, 0x1ffffffc, v11
	v_lshlrev_b32_e32 v6, 2, v6
	v_add_u32_e32 v17, v1, v5
	v_mbcnt_lo_u32_b32 v1, -1, 0
	s_mov_b32 s19, 0
	v_cmp_gt_u32_e64 s[4:5], 64, v0
	s_addc_u32 s29, s25, 0
	v_mov_b32_e32 v9, 0
	v_add3_u32 v11, v11, v6, s6
	v_add_u32_e32 v12, 0x280, v2
	s_lshl_b32 s58, s54, 2
	v_add_u32_e32 v13, 0x27c, v2
	s_movk_i32 s59, 0xfff
	v_bfrev_b32_e32 v14, -2
	v_mov_b32_e32 v15, 1
	s_movk_i32 s60, 0x7ff
	v_lshlrev_b32_e32 v16, 2, v0
	s_movk_i32 s61, 0x800
	v_mbcnt_hi_u32_b32 v18, -1, v1
	v_mov_b32_e32 v19, 0x7ffff800
	v_add_u32_e32 v20, v3, v4
	s_mov_b32 s62, 0
	s_branch .LBB2_14
.LBB2_13:                               ;   in Loop: Header=BB2_14 Depth=1
	s_andn2_b64 vcc, exec, s[30:31]
	s_cbranch_vccz .LBB2_137
.LBB2_14:                               ; =>This Loop Header: Depth=1
                                        ;     Child Loop BB2_20 Depth 2
                                        ;     Child Loop BB2_30 Depth 2
	;; [unrolled: 1-line block ×6, first 2 shown]
	s_mov_b64 s[6:7], 0
	s_cmp_lt_i32 s62, 1
	s_mov_b64 s[16:17], s[14:15]
	s_mov_b64 s[36:37], 0
	;; [unrolled: 1-line block ×4, first 2 shown]
	s_cbranch_scc1 .LBB2_19
; %bb.15:                               ;   in Loop: Header=BB2_14 Depth=1
	s_cmp_lg_u32 s62, 1
	s_mov_b64 s[10:11], -1
	s_cbranch_scc0 .LBB2_17
; %bb.16:                               ;   in Loop: Header=BB2_14 Depth=1
	s_mov_b64 s[10:11], 0
.LBB2_17:                               ;   in Loop: Header=BB2_14 Depth=1
	s_andn2_b64 vcc, exec, s[10:11]
	s_mov_b64 s[10:11], s[28:29]
	s_mov_b64 s[34:35], s[26:27]
	;; [unrolled: 1-line block ×4, first 2 shown]
	s_cbranch_vccnz .LBB2_19
; %bb.18:                               ;   in Loop: Header=BB2_14 Depth=1
	s_mov_b64 s[10:11], s[24:25]
	s_mov_b64 s[34:35], s[22:23]
	;; [unrolled: 1-line block ×4, first 2 shown]
.LBB2_19:                               ;   in Loop: Header=BB2_14 Depth=1
	ds_read_b96 v[2:4], v9
	v_mov_b32_e32 v1, v12
	s_waitcnt lgkmcnt(0)
	v_readfirstlane_b32 s63, v2
	v_readfirstlane_b32 s57, v3
	;; [unrolled: 1-line block ×3, first 2 shown]
	v_mov_b32_e32 v2, v0
.LBB2_20:                               ;   Parent Loop BB2_14 Depth=1
                                        ; =>  This Inner Loop Header: Depth=2
	v_add_u32_e32 v2, s54, v2
	v_cmp_lt_u32_e32 vcc, s59, v2
	ds_write_b32 v1, v9
	s_or_b64 s[6:7], vcc, s[6:7]
	v_add_u32_e32 v1, s58, v1
	s_andn2_b64 exec, exec, s[6:7]
	s_cbranch_execnz .LBB2_20
; %bb.21:                               ;   in Loop: Header=BB2_14 Depth=1
	s_or_b64 exec, exec, s[6:7]
	s_and_saveexec_b64 s[6:7], s[2:3]
; %bb.22:                               ;   in Loop: Header=BB2_14 Depth=1
	ds_write_b32 v9, v9 offset:128
; %bb.23:                               ;   in Loop: Header=BB2_14 Depth=1
	s_or_b64 exec, exec, s[6:7]
	s_cmp_gt_i32 s18, s20
	s_cselect_b64 s[38:39], -1, 0
	s_cmp_gt_i32 s57, s20
	s_cselect_b64 s[12:13], -1, 0
	s_and_b64 s[6:7], s[38:39], exec
	s_cselect_b32 s31, s15, s17
	s_cselect_b32 s30, s14, s16
	s_cselect_b32 s65, s55, s18
	s_and_b64 s[6:7], s[12:13], exec
	s_mul_i32 s18, s62, -11
	s_cselect_b32 s17, 0, s35
	s_cselect_b32 s16, 0, s34
	s_max_i32 s56, s18, 0xffffffeb
	s_add_i32 s56, s56, 21
	s_add_i32 s18, s18, 32
	s_sub_i32 s6, s18, s56
	s_lshl_b32 s6, -1, s6
	s_not_b32 s64, s6
	s_cmp_lg_u32 s62, 0
	s_waitcnt vmcnt(0) lgkmcnt(0)
	s_barrier
	s_cbranch_scc0 .LBB2_39
; %bb.24:                               ;   in Loop: Header=BB2_14 Depth=1
	ds_read_b32 v4, v9 offset:12
	s_cmp_lg_u64 s[16:17], 0
	v_cmp_gt_i32_e64 s[6:7], s65, v0
	s_cbranch_scc0 .LBB2_41
; %bb.25:                               ;   in Loop: Header=BB2_14 Depth=1
	s_and_b64 s[38:39], s[38:39], exec
	s_cselect_b32 s37, s9, s37
	s_cselect_b32 s36, s8, s36
	s_cmp_eq_u64 s[36:37], 0
	s_cbranch_scc1 .LBB2_42
; %bb.26:                               ;   in Loop: Header=BB2_14 Depth=1
	s_and_saveexec_b64 s[38:39], s[6:7]
	s_cbranch_execz .LBB2_40
; %bb.27:                               ;   in Loop: Header=BB2_14 Depth=1
	s_lshl_b32 s66, -1, s18
	s_mov_b64 s[40:41], 0
	v_mov_b32_e32 v5, s31
	v_mov_b32_e32 v1, v0
	s_branch .LBB2_30
.LBB2_28:                               ;   in Loop: Header=BB2_30 Depth=2
	s_or_b64 exec, exec, s[44:45]
	v_mov_b32_e32 v24, s37
	v_add_co_u32_e32 v2, vcc, s36, v2
	v_addc_co_u32_e32 v3, vcc, v24, v3, vcc
	global_load_dword v24, v[2:3], off
	s_waitcnt lgkmcnt(0)
	v_readfirstlane_b32 s44, v23
	v_lshrrev_b32_e32 v3, s56, v21
	v_add_u32_e32 v2, s44, v22
	v_and_b32_e32 v26, s64, v3
	v_ashrrev_i32_e32 v3, 31, v2
	v_lshlrev_b64 v[2:3], 2, v[2:3]
	v_mov_b32_e32 v23, s35
	v_add_co_u32_e32 v21, vcc, s34, v2
	v_addc_co_u32_e32 v22, vcc, v23, v3, vcc
	v_mov_b32_e32 v25, s11
	v_add_co_u32_e32 v2, vcc, s10, v2
	v_addc_co_u32_e32 v3, vcc, v25, v3, vcc
	global_store_dword v[21:22], v6, off
	s_waitcnt vmcnt(1)
	global_store_dword v[2:3], v24, off
	v_lshlrev_b32_e32 v2, 2, v26
	ds_add_u32 v2, v15 offset:640
.LBB2_29:                               ;   in Loop: Header=BB2_30 Depth=2
	s_or_b64 exec, exec, s[42:43]
	v_add_u32_e32 v1, s54, v1
	v_cmp_le_i32_e32 vcc, s65, v1
	s_or_b64 s[40:41], vcc, s[40:41]
	s_andn2_b64 exec, exec, s[40:41]
	s_cbranch_execz .LBB2_40
.LBB2_30:                               ;   Parent Loop BB2_14 Depth=1
                                        ; =>  This Inner Loop Header: Depth=2
	v_ashrrev_i32_e32 v2, 31, v1
	v_lshlrev_b64 v[2:3], 2, v[1:2]
	v_add_co_u32_e32 v21, vcc, s30, v2
	v_addc_co_u32_e32 v22, vcc, v5, v3, vcc
	global_load_dword v6, v[21:22], off
	s_waitcnt vmcnt(0)
	v_cmp_gt_f32_e32 vcc, 0, v6
	v_cndmask_b32_e64 v21, v14, 0, vcc
	v_xor_b32_e32 v21, v21, v6
	v_and_b32_e32 v22, s66, v21
	s_waitcnt lgkmcnt(0)
	v_cmp_ne_u32_e32 vcc, v22, v4
	s_and_saveexec_b64 s[42:43], vcc
	s_xor_b64 s[42:43], exec, s[42:43]
	s_cbranch_execz .LBB2_36
; %bb.31:                               ;   in Loop: Header=BB2_30 Depth=2
	v_cmp_lt_u32_e32 vcc, v22, v4
	s_and_saveexec_b64 s[44:45], vcc
	s_cbranch_execz .LBB2_35
; %bb.32:                               ;   in Loop: Header=BB2_30 Depth=2
	s_mov_b64 s[48:49], exec
	v_mbcnt_lo_u32_b32 v21, s48, 0
	v_mbcnt_hi_u32_b32 v21, s49, v21
	v_cmp_eq_u32_e32 vcc, 0, v21
                                        ; implicit-def: $vgpr22
	s_and_saveexec_b64 s[46:47], vcc
; %bb.33:                               ;   in Loop: Header=BB2_30 Depth=2
	s_bcnt1_i32_b64 s48, s[48:49]
	v_mov_b32_e32 v22, s48
	ds_add_rtn_u32 v22, v9, v22 offset:384
; %bb.34:                               ;   in Loop: Header=BB2_30 Depth=2
	s_or_b64 exec, exec, s[46:47]
	v_mov_b32_e32 v23, s37
	v_add_co_u32_e32 v2, vcc, s36, v2
	v_addc_co_u32_e32 v3, vcc, v23, v3, vcc
	global_load_dword v23, v[2:3], off
	s_waitcnt lgkmcnt(0)
	v_readfirstlane_b32 s46, v22
	v_add_u32_e32 v2, s46, v21
	v_ashrrev_i32_e32 v3, 31, v2
	v_lshlrev_b64 v[2:3], 2, v[2:3]
	v_mov_b32_e32 v22, s51
	v_add_co_u32_e32 v21, vcc, s50, v2
	v_addc_co_u32_e32 v22, vcc, v22, v3, vcc
	global_store_dword v[21:22], v6, off
	v_mov_b32_e32 v6, s53
	v_add_co_u32_e32 v2, vcc, s52, v2
	v_addc_co_u32_e32 v3, vcc, v6, v3, vcc
	s_waitcnt vmcnt(1)
	global_store_dword v[2:3], v23, off
.LBB2_35:                               ;   in Loop: Header=BB2_30 Depth=2
	s_or_b64 exec, exec, s[44:45]
                                        ; implicit-def: $vgpr6
                                        ; implicit-def: $vgpr2_vgpr3
                                        ; implicit-def: $vgpr21
.LBB2_36:                               ;   in Loop: Header=BB2_30 Depth=2
	s_andn2_saveexec_b64 s[42:43], s[42:43]
	s_cbranch_execz .LBB2_29
; %bb.37:                               ;   in Loop: Header=BB2_30 Depth=2
	s_mov_b64 s[46:47], exec
	v_mbcnt_lo_u32_b32 v22, s46, 0
	v_mbcnt_hi_u32_b32 v22, s47, v22
	v_cmp_eq_u32_e32 vcc, 0, v22
                                        ; implicit-def: $vgpr23
	s_and_saveexec_b64 s[44:45], vcc
	s_cbranch_execz .LBB2_28
; %bb.38:                               ;   in Loop: Header=BB2_30 Depth=2
	s_bcnt1_i32_b64 s46, s[46:47]
	v_mov_b32_e32 v23, s46
	ds_add_rtn_u32 v23, v9, v23 offset:128
	s_branch .LBB2_28
.LBB2_39:                               ;   in Loop: Header=BB2_14 Depth=1
	s_mov_b64 s[34:35], 0
	s_branch .LBB2_65
.LBB2_40:                               ;   in Loop: Header=BB2_14 Depth=1
	s_or_b64 exec, exec, s[38:39]
	s_cbranch_execz .LBB2_43
	s_branch .LBB2_57
.LBB2_41:                               ;   in Loop: Header=BB2_14 Depth=1
	s_branch .LBB2_58
.LBB2_42:                               ;   in Loop: Header=BB2_14 Depth=1
.LBB2_43:                               ;   in Loop: Header=BB2_14 Depth=1
	s_and_saveexec_b64 s[36:37], s[6:7]
	s_cbranch_execz .LBB2_56
; %bb.44:                               ;   in Loop: Header=BB2_14 Depth=1
	s_lshl_b32 s46, -1, s18
	s_mov_b64 s[6:7], 0
	v_mov_b32_e32 v3, s31
	v_mov_b32_e32 v1, v0
	s_branch .LBB2_47
.LBB2_45:                               ;   in Loop: Header=BB2_47 Depth=2
	s_or_b64 exec, exec, s[40:41]
	s_waitcnt lgkmcnt(0)
	v_readfirstlane_b32 s40, v21
	v_add_u32_e32 v21, s40, v6
	v_ashrrev_i32_e32 v22, 31, v21
	v_lshlrev_b64 v[21:22], 2, v[21:22]
	v_mov_b32_e32 v6, s35
	v_add_co_u32_e32 v23, vcc, s34, v21
	v_addc_co_u32_e32 v24, vcc, v6, v22, vcc
	global_store_dword v[23:24], v2, off
	v_mov_b32_e32 v2, s11
	v_add_co_u32_e32 v21, vcc, s10, v21
	v_addc_co_u32_e32 v22, vcc, v2, v22, vcc
	v_lshrrev_b32_e32 v2, s56, v5
	v_and_b32_e32 v2, s64, v2
	global_store_dword v[21:22], v1, off
	v_lshlrev_b32_e32 v2, 2, v2
	ds_add_u32 v2, v15 offset:640
.LBB2_46:                               ;   in Loop: Header=BB2_47 Depth=2
	s_or_b64 exec, exec, s[38:39]
	v_add_u32_e32 v1, s54, v1
	v_cmp_le_i32_e32 vcc, s65, v1
	s_or_b64 s[6:7], vcc, s[6:7]
	s_andn2_b64 exec, exec, s[6:7]
	s_cbranch_execz .LBB2_56
.LBB2_47:                               ;   Parent Loop BB2_14 Depth=1
                                        ; =>  This Inner Loop Header: Depth=2
	v_ashrrev_i32_e32 v2, 31, v1
	v_lshlrev_b64 v[5:6], 2, v[1:2]
	v_add_co_u32_e32 v5, vcc, s30, v5
	v_addc_co_u32_e32 v6, vcc, v3, v6, vcc
	global_load_dword v2, v[5:6], off
	s_waitcnt vmcnt(0)
	v_cmp_gt_f32_e32 vcc, 0, v2
	v_cndmask_b32_e64 v5, v14, 0, vcc
	v_xor_b32_e32 v5, v5, v2
	v_and_b32_e32 v6, s46, v5
	s_waitcnt lgkmcnt(0)
	v_cmp_ne_u32_e32 vcc, v6, v4
	s_and_saveexec_b64 s[38:39], vcc
	s_xor_b64 s[38:39], exec, s[38:39]
	s_cbranch_execz .LBB2_53
; %bb.48:                               ;   in Loop: Header=BB2_47 Depth=2
	v_cmp_lt_u32_e32 vcc, v6, v4
	s_and_saveexec_b64 s[40:41], vcc
	s_cbranch_execz .LBB2_52
; %bb.49:                               ;   in Loop: Header=BB2_47 Depth=2
	s_mov_b64 s[44:45], exec
	v_mbcnt_lo_u32_b32 v5, s44, 0
	v_mbcnt_hi_u32_b32 v5, s45, v5
	v_cmp_eq_u32_e32 vcc, 0, v5
                                        ; implicit-def: $vgpr6
	s_and_saveexec_b64 s[42:43], vcc
; %bb.50:                               ;   in Loop: Header=BB2_47 Depth=2
	s_bcnt1_i32_b64 s44, s[44:45]
	v_mov_b32_e32 v6, s44
	ds_add_rtn_u32 v6, v9, v6 offset:384
; %bb.51:                               ;   in Loop: Header=BB2_47 Depth=2
	s_or_b64 exec, exec, s[42:43]
	s_waitcnt lgkmcnt(0)
	v_readfirstlane_b32 s42, v6
	v_add_u32_e32 v5, s42, v5
	v_ashrrev_i32_e32 v6, 31, v5
	v_lshlrev_b64 v[5:6], 2, v[5:6]
	v_mov_b32_e32 v22, s51
	v_add_co_u32_e32 v21, vcc, s50, v5
	v_addc_co_u32_e32 v22, vcc, v22, v6, vcc
	global_store_dword v[21:22], v2, off
	v_mov_b32_e32 v2, s53
	v_add_co_u32_e32 v5, vcc, s52, v5
	v_addc_co_u32_e32 v6, vcc, v2, v6, vcc
	global_store_dword v[5:6], v1, off
.LBB2_52:                               ;   in Loop: Header=BB2_47 Depth=2
	s_or_b64 exec, exec, s[40:41]
                                        ; implicit-def: $vgpr2
                                        ; implicit-def: $vgpr5
.LBB2_53:                               ;   in Loop: Header=BB2_47 Depth=2
	s_andn2_saveexec_b64 s[38:39], s[38:39]
	s_cbranch_execz .LBB2_46
; %bb.54:                               ;   in Loop: Header=BB2_47 Depth=2
	s_mov_b64 s[42:43], exec
	v_mbcnt_lo_u32_b32 v6, s42, 0
	v_mbcnt_hi_u32_b32 v6, s43, v6
	v_cmp_eq_u32_e32 vcc, 0, v6
                                        ; implicit-def: $vgpr21
	s_and_saveexec_b64 s[40:41], vcc
	s_cbranch_execz .LBB2_45
; %bb.55:                               ;   in Loop: Header=BB2_47 Depth=2
	s_bcnt1_i32_b64 s42, s[42:43]
	v_mov_b32_e32 v21, s42
	ds_add_rtn_u32 v21, v9, v21 offset:128
	s_branch .LBB2_45
.LBB2_56:                               ;   in Loop: Header=BB2_14 Depth=1
	s_or_b64 exec, exec, s[36:37]
.LBB2_57:                               ;   in Loop: Header=BB2_14 Depth=1
	s_cbranch_execnz .LBB2_64
.LBB2_58:                               ;   in Loop: Header=BB2_14 Depth=1
	v_cmp_gt_i32_e32 vcc, s65, v0
	s_and_saveexec_b64 s[6:7], vcc
	s_cbranch_execz .LBB2_63
; %bb.59:                               ;   in Loop: Header=BB2_14 Depth=1
	s_lshl_b32 s18, -1, s18
	s_mov_b64 s[34:35], 0
	v_mov_b32_e32 v1, v0
	s_branch .LBB2_61
.LBB2_60:                               ;   in Loop: Header=BB2_61 Depth=2
	s_or_b64 exec, exec, s[36:37]
	v_add_u32_e32 v1, s54, v1
	v_cmp_le_i32_e32 vcc, s65, v1
	s_or_b64 s[34:35], vcc, s[34:35]
	s_andn2_b64 exec, exec, s[34:35]
	s_cbranch_execz .LBB2_63
.LBB2_61:                               ;   Parent Loop BB2_14 Depth=1
                                        ; =>  This Inner Loop Header: Depth=2
	v_ashrrev_i32_e32 v2, 31, v1
	v_lshlrev_b64 v[2:3], 2, v[1:2]
	v_mov_b32_e32 v5, s31
	v_add_co_u32_e32 v2, vcc, s30, v2
	v_addc_co_u32_e32 v3, vcc, v5, v3, vcc
	global_load_dword v2, v[2:3], off
	s_waitcnt vmcnt(0)
	v_cmp_gt_f32_e32 vcc, 0, v2
	v_cndmask_b32_e64 v3, v14, 0, vcc
	v_xor_b32_e32 v2, v3, v2
	v_and_b32_e32 v3, s18, v2
	s_waitcnt lgkmcnt(0)
	v_cmp_eq_u32_e32 vcc, v3, v4
	s_and_saveexec_b64 s[36:37], vcc
	s_cbranch_execz .LBB2_60
; %bb.62:                               ;   in Loop: Header=BB2_61 Depth=2
	v_lshrrev_b32_e32 v2, s56, v2
	v_and_b32_e32 v2, s64, v2
	v_lshlrev_b32_e32 v2, 2, v2
	ds_add_u32 v2, v15 offset:640
	s_branch .LBB2_60
.LBB2_63:                               ;   in Loop: Header=BB2_14 Depth=1
	s_or_b64 exec, exec, s[6:7]
.LBB2_64:                               ;   in Loop: Header=BB2_14 Depth=1
	s_mov_b64 s[34:35], 0
	s_cbranch_execnz .LBB2_123
.LBB2_65:                               ;   in Loop: Header=BB2_14 Depth=1
	s_and_b32 s18, s30, 15
	s_sub_i32 s6, 16, s18
	s_lshr_b32 s6, s6, 2
	s_cmp_lg_u64 s[18:19], 0
	s_cselect_b32 s6, s6, 0
	s_min_i32 s6, s6, s65
	s_sub_i32 s7, s65, s6
	s_ashr_i32 s18, s7, 31
	s_lshr_b32 s18, s18, 30
	s_add_i32 s7, s7, s18
	s_ashr_i32 s18, s7, 2
	v_cmp_gt_i32_e32 vcc, s18, v0
	v_mov_b32_e32 v21, 0xff7fffff
	v_mov_b32_e32 v22, 0x7f7fffff
	;; [unrolled: 1-line block ×3, first 2 shown]
	v_mov_b32_e32 v23, -1
                                        ; implicit-def: $vgpr4
	s_and_saveexec_b64 s[34:35], vcc
	s_cbranch_execz .LBB2_93
; %bb.66:                               ;   in Loop: Header=BB2_14 Depth=1
	s_ashr_i32 s7, s6, 31
	s_lshl_b64 s[36:37], s[6:7], 2
	s_add_u32 s7, s30, s36
	s_addc_u32 s42, s31, s37
	v_mov_b32_e32 v24, 0
	v_mov_b32_e32 v23, -1
	v_mov_b32_e32 v22, 0x7f7fffff
	v_mov_b32_e32 v21, 0xff7fffff
	s_mov_b64 s[36:37], 0
	v_mov_b32_e32 v5, v0
	s_branch .LBB2_68
.LBB2_67:                               ;   in Loop: Header=BB2_68 Depth=2
	s_or_b64 exec, exec, s[38:39]
	v_min3_f32 v6, v22, v1, v2
	v_max3_f32 v1, v21, v1, v2
	v_and_b32_e32 v2, 0x7ff, v26
	v_lshlrev_b32_e32 v2, 2, v2
	ds_add_u32 v2, v15 offset:8832
	v_add_u32_e32 v5, s54, v5
	v_cmp_le_i32_e32 vcc, s18, v5
	v_min3_f32 v22, v6, v3, v4
	s_or_b64 s[36:37], vcc, s[36:37]
	v_max3_f32 v21, v1, v3, v4
	s_andn2_b64 exec, exec, s[36:37]
	s_cbranch_execz .LBB2_92
.LBB2_68:                               ;   Parent Loop BB2_14 Depth=1
                                        ; =>  This Inner Loop Header: Depth=2
	v_ashrrev_i32_e32 v6, 31, v5
	v_lshlrev_b64 v[1:2], 4, v[5:6]
	v_mov_b32_e32 v3, s42
	v_add_co_u32_e32 v1, vcc, s7, v1
	v_addc_co_u32_e32 v2, vcc, v3, v2, vcc
	s_waitcnt lgkmcnt(0)
	global_load_dwordx4 v[1:4], v[1:2], off
	s_waitcnt vmcnt(0)
	v_cmp_gt_f32_e32 vcc, 0, v1
	v_cndmask_b32_e64 v6, v14, 0, vcc
	v_xor_b32_e32 v26, v6, v1
	v_lshrrev_b32_e32 v6, s56, v26
	v_and_b32_e32 v6, s64, v6
	v_cmp_ne_u32_e32 vcc, v6, v23
	s_and_saveexec_b64 s[38:39], vcc
	s_xor_b64 s[38:39], exec, s[38:39]
	s_cbranch_execz .LBB2_72
; %bb.69:                               ;   in Loop: Header=BB2_68 Depth=2
	v_cmp_lt_i32_e32 vcc, 0, v24
	s_and_saveexec_b64 s[40:41], vcc
; %bb.70:                               ;   in Loop: Header=BB2_68 Depth=2
	v_lshlrev_b32_e32 v23, 2, v23
	ds_add_u32 v23, v24 offset:640
; %bb.71:                               ;   in Loop: Header=BB2_68 Depth=2
	s_or_b64 exec, exec, s[40:41]
                                        ; implicit-def: $vgpr24
                                        ; implicit-def: $vgpr23
.LBB2_72:                               ;   in Loop: Header=BB2_68 Depth=2
	s_or_saveexec_b64 s[38:39], s[38:39]
	v_mov_b32_e32 v25, 1
	s_xor_b64 exec, exec, s[38:39]
; %bb.73:                               ;   in Loop: Header=BB2_68 Depth=2
	v_add_u32_e32 v25, 1, v24
	v_mov_b32_e32 v6, v23
; %bb.74:                               ;   in Loop: Header=BB2_68 Depth=2
	s_or_b64 exec, exec, s[38:39]
	v_and_b32_e32 v23, 0x7ff, v26
	v_lshlrev_b32_e32 v23, 2, v23
	v_cmp_gt_f32_e32 vcc, 0, v2
	ds_add_u32 v23, v15 offset:8832
	v_cndmask_b32_e64 v23, v14, 0, vcc
	v_xor_b32_e32 v26, v23, v2
	v_lshrrev_b32_e32 v23, s56, v26
	v_and_b32_e32 v23, s64, v23
	v_cmp_ne_u32_e32 vcc, v23, v6
	s_and_saveexec_b64 s[38:39], vcc
	s_xor_b64 s[38:39], exec, s[38:39]
	s_cbranch_execz .LBB2_78
; %bb.75:                               ;   in Loop: Header=BB2_68 Depth=2
	v_cmp_lt_i32_e32 vcc, 0, v25
	s_and_saveexec_b64 s[40:41], vcc
; %bb.76:                               ;   in Loop: Header=BB2_68 Depth=2
	v_lshlrev_b32_e32 v6, 2, v6
	ds_add_u32 v6, v25 offset:640
; %bb.77:                               ;   in Loop: Header=BB2_68 Depth=2
	s_or_b64 exec, exec, s[40:41]
                                        ; implicit-def: $vgpr25
                                        ; implicit-def: $vgpr6
.LBB2_78:                               ;   in Loop: Header=BB2_68 Depth=2
	s_or_saveexec_b64 s[38:39], s[38:39]
	v_mov_b32_e32 v24, 1
	s_xor_b64 exec, exec, s[38:39]
; %bb.79:                               ;   in Loop: Header=BB2_68 Depth=2
	v_add_u32_e32 v24, 1, v25
	v_mov_b32_e32 v23, v6
; %bb.80:                               ;   in Loop: Header=BB2_68 Depth=2
	s_or_b64 exec, exec, s[38:39]
	v_and_b32_e32 v6, 0x7ff, v26
	v_lshlrev_b32_e32 v6, 2, v6
	v_cmp_gt_f32_e32 vcc, 0, v3
	ds_add_u32 v6, v15 offset:8832
	v_cndmask_b32_e64 v6, v14, 0, vcc
	v_xor_b32_e32 v26, v6, v3
	v_lshrrev_b32_e32 v6, s56, v26
	v_and_b32_e32 v6, s64, v6
	v_cmp_ne_u32_e32 vcc, v6, v23
	s_and_saveexec_b64 s[38:39], vcc
	s_xor_b64 s[38:39], exec, s[38:39]
	s_cbranch_execz .LBB2_84
; %bb.81:                               ;   in Loop: Header=BB2_68 Depth=2
	v_cmp_lt_i32_e32 vcc, 0, v24
	s_and_saveexec_b64 s[40:41], vcc
; %bb.82:                               ;   in Loop: Header=BB2_68 Depth=2
	v_lshlrev_b32_e32 v23, 2, v23
	ds_add_u32 v23, v24 offset:640
; %bb.83:                               ;   in Loop: Header=BB2_68 Depth=2
	s_or_b64 exec, exec, s[40:41]
                                        ; implicit-def: $vgpr24
                                        ; implicit-def: $vgpr23
.LBB2_84:                               ;   in Loop: Header=BB2_68 Depth=2
	s_or_saveexec_b64 s[38:39], s[38:39]
	v_mov_b32_e32 v25, 1
	s_xor_b64 exec, exec, s[38:39]
; %bb.85:                               ;   in Loop: Header=BB2_68 Depth=2
	v_add_u32_e32 v25, 1, v24
	v_mov_b32_e32 v6, v23
; %bb.86:                               ;   in Loop: Header=BB2_68 Depth=2
	s_or_b64 exec, exec, s[38:39]
	v_and_b32_e32 v23, 0x7ff, v26
	v_lshlrev_b32_e32 v23, 2, v23
	v_cmp_gt_f32_e32 vcc, 0, v4
	ds_add_u32 v23, v15 offset:8832
	v_cndmask_b32_e64 v23, v14, 0, vcc
	v_xor_b32_e32 v26, v23, v4
	v_lshrrev_b32_e32 v23, s56, v26
	v_and_b32_e32 v23, s64, v23
	v_cmp_ne_u32_e32 vcc, v23, v6
	s_and_saveexec_b64 s[38:39], vcc
	s_xor_b64 s[38:39], exec, s[38:39]
	s_cbranch_execz .LBB2_90
; %bb.87:                               ;   in Loop: Header=BB2_68 Depth=2
	v_cmp_lt_i32_e32 vcc, 0, v25
	s_and_saveexec_b64 s[40:41], vcc
; %bb.88:                               ;   in Loop: Header=BB2_68 Depth=2
	v_lshlrev_b32_e32 v6, 2, v6
	ds_add_u32 v6, v25 offset:640
; %bb.89:                               ;   in Loop: Header=BB2_68 Depth=2
	s_or_b64 exec, exec, s[40:41]
                                        ; implicit-def: $vgpr25
                                        ; implicit-def: $vgpr6
.LBB2_90:                               ;   in Loop: Header=BB2_68 Depth=2
	s_or_saveexec_b64 s[38:39], s[38:39]
	v_mov_b32_e32 v24, 1
	s_xor_b64 exec, exec, s[38:39]
	s_cbranch_execz .LBB2_67
; %bb.91:                               ;   in Loop: Header=BB2_68 Depth=2
	v_add_u32_e32 v24, 1, v25
	v_mov_b32_e32 v23, v6
	s_branch .LBB2_67
.LBB2_92:                               ;   in Loop: Header=BB2_14 Depth=1
	s_or_b64 exec, exec, s[36:37]
.LBB2_93:                               ;   in Loop: Header=BB2_14 Depth=1
	s_or_b64 exec, exec, s[34:35]
	v_cmp_gt_u32_e32 vcc, s6, v0
	s_and_saveexec_b64 s[34:35], vcc
	s_cbranch_execz .LBB2_101
; %bb.94:                               ;   in Loop: Header=BB2_14 Depth=1
	s_waitcnt lgkmcnt(0)
	global_load_dword v4, v16, s[30:31]
	s_waitcnt vmcnt(0)
	v_cmp_gt_f32_e32 vcc, 0, v4
	v_cndmask_b32_e64 v1, v14, 0, vcc
	v_xor_b32_e32 v2, v1, v4
	v_lshrrev_b32_e32 v1, s56, v2
	v_and_b32_e32 v1, s64, v1
	v_cmp_ne_u32_e32 vcc, v1, v23
	s_and_saveexec_b64 s[36:37], vcc
	s_xor_b64 s[36:37], exec, s[36:37]
	s_cbranch_execz .LBB2_98
; %bb.95:                               ;   in Loop: Header=BB2_14 Depth=1
	v_cmp_lt_i32_e32 vcc, 0, v24
	s_and_saveexec_b64 s[38:39], vcc
; %bb.96:                               ;   in Loop: Header=BB2_14 Depth=1
	v_lshlrev_b32_e32 v3, 2, v23
	ds_add_u32 v3, v24 offset:640
; %bb.97:                               ;   in Loop: Header=BB2_14 Depth=1
	s_or_b64 exec, exec, s[38:39]
                                        ; implicit-def: $vgpr24
                                        ; implicit-def: $vgpr23
.LBB2_98:                               ;   in Loop: Header=BB2_14 Depth=1
	s_or_saveexec_b64 s[36:37], s[36:37]
	v_mov_b32_e32 v3, 1
	s_xor_b64 exec, exec, s[36:37]
; %bb.99:                               ;   in Loop: Header=BB2_14 Depth=1
	v_add_u32_e32 v3, 1, v24
	v_mov_b32_e32 v1, v23
; %bb.100:                              ;   in Loop: Header=BB2_14 Depth=1
	s_or_b64 exec, exec, s[36:37]
	v_and_b32_e32 v2, 0x7ff, v2
	v_lshlrev_b32_e32 v2, 2, v2
	ds_add_u32 v2, v15 offset:8832
	v_max_f32_e32 v2, v22, v22
	v_max_f32_e32 v5, v4, v4
	v_min_f32_e32 v22, v2, v5
	v_max_f32_e32 v2, v21, v21
	v_max_f32_e32 v21, v2, v5
	v_mov_b32_e32 v23, v1
	v_mov_b32_e32 v24, v3
.LBB2_101:                              ;   in Loop: Header=BB2_14 Depth=1
	s_or_b64 exec, exec, s[34:35]
	s_lshl_b32 s7, s18, 2
	s_add_i32 s7, s7, s6
	v_add_u32_e32 v1, s7, v0
	v_cmp_gt_i32_e32 vcc, s65, v1
	s_and_saveexec_b64 s[6:7], vcc
	s_cbranch_execz .LBB2_109
; %bb.102:                              ;   in Loop: Header=BB2_14 Depth=1
	v_ashrrev_i32_e32 v2, 31, v1
	v_lshlrev_b64 v[1:2], 2, v[1:2]
	v_mov_b32_e32 v3, s31
	v_add_co_u32_e32 v1, vcc, s30, v1
	v_addc_co_u32_e32 v2, vcc, v3, v2, vcc
	s_waitcnt lgkmcnt(0)
	global_load_dword v4, v[1:2], off
	s_waitcnt vmcnt(0)
	v_cmp_gt_f32_e32 vcc, 0, v4
	v_cndmask_b32_e64 v1, v14, 0, vcc
	v_xor_b32_e32 v2, v1, v4
	v_lshrrev_b32_e32 v1, s56, v2
	v_and_b32_e32 v1, s64, v1
	v_cmp_ne_u32_e32 vcc, v1, v23
	s_and_saveexec_b64 s[30:31], vcc
	s_xor_b64 s[30:31], exec, s[30:31]
	s_cbranch_execz .LBB2_106
; %bb.103:                              ;   in Loop: Header=BB2_14 Depth=1
	v_cmp_lt_i32_e32 vcc, 0, v24
	s_and_saveexec_b64 s[34:35], vcc
; %bb.104:                              ;   in Loop: Header=BB2_14 Depth=1
	v_lshlrev_b32_e32 v3, 2, v23
	ds_add_u32 v3, v24 offset:640
; %bb.105:                              ;   in Loop: Header=BB2_14 Depth=1
	s_or_b64 exec, exec, s[34:35]
                                        ; implicit-def: $vgpr24
                                        ; implicit-def: $vgpr23
.LBB2_106:                              ;   in Loop: Header=BB2_14 Depth=1
	s_or_saveexec_b64 s[30:31], s[30:31]
	v_mov_b32_e32 v3, 1
	s_xor_b64 exec, exec, s[30:31]
; %bb.107:                              ;   in Loop: Header=BB2_14 Depth=1
	v_add_u32_e32 v3, 1, v24
	v_mov_b32_e32 v1, v23
; %bb.108:                              ;   in Loop: Header=BB2_14 Depth=1
	s_or_b64 exec, exec, s[30:31]
	v_and_b32_e32 v2, 0x7ff, v2
	v_lshlrev_b32_e32 v2, 2, v2
	ds_add_u32 v2, v15 offset:8832
	v_max_f32_e32 v2, v22, v22
	v_max_f32_e32 v5, v4, v4
	v_min_f32_e32 v22, v2, v5
	v_max_f32_e32 v2, v21, v21
	v_max_f32_e32 v21, v2, v5
	v_mov_b32_e32 v23, v1
	v_mov_b32_e32 v24, v3
.LBB2_109:                              ;   in Loop: Header=BB2_14 Depth=1
	s_or_b64 exec, exec, s[6:7]
	v_cmp_lt_i32_e32 vcc, 0, v24
	s_and_saveexec_b64 s[6:7], vcc
	s_cbranch_execz .LBB2_112
; %bb.110:                              ;   in Loop: Header=BB2_14 Depth=1
	s_waitcnt lgkmcnt(0)
	v_cmp_lt_f32_e32 vcc, 0, v4
	v_xor_b32_e32 v1, 0x80000000, v4
	v_cndmask_b32_e64 v2, v14, 0, vcc
	v_xor_b32_e32 v1, v2, v1
	v_lshrrev_b32_e32 v1, s56, v1
	v_and_b32_e32 v1, s64, v1
	v_cmp_ne_u32_e32 vcc, v1, v23
	s_and_b64 exec, exec, vcc
; %bb.111:                              ;   in Loop: Header=BB2_14 Depth=1
	v_lshlrev_b32_e32 v1, 2, v23
	ds_add_u32 v1, v24 offset:640
.LBB2_112:                              ;   in Loop: Header=BB2_14 Depth=1
	s_or_b64 exec, exec, s[6:7]
	v_mov_b32_dpp v1, v22 quad_perm:[1,0,3,2] row_mask:0xf bank_mask:0xf bound_ctrl:1
	v_cmp_lt_f32_e32 vcc, v22, v1
	v_cndmask_b32_e32 v1, v1, v22, vcc
	s_nop 1
	v_mov_b32_dpp v2, v1 quad_perm:[2,3,0,1] row_mask:0xf bank_mask:0xf bound_ctrl:1
	v_cmp_lt_f32_e32 vcc, v1, v2
	v_cndmask_b32_e32 v1, v2, v1, vcc
	s_nop 1
	v_mov_b32_dpp v2, v1 row_ror:4 row_mask:0xf bank_mask:0xf bound_ctrl:1
	v_cmp_lt_f32_e32 vcc, v1, v2
	v_cndmask_b32_e32 v1, v2, v1, vcc
	s_nop 1
	v_mov_b32_dpp v2, v1 row_ror:8 row_mask:0xf bank_mask:0xf bound_ctrl:1
	v_cmp_lt_f32_e32 vcc, v1, v2
	v_cndmask_b32_e32 v1, v2, v1, vcc
	s_nop 1
	v_mov_b32_dpp v2, v1 row_bcast:15 row_mask:0xf bank_mask:0xf bound_ctrl:1
	v_cmp_lt_f32_e32 vcc, v1, v2
	v_cndmask_b32_e32 v1, v2, v1, vcc
	s_nop 1
	v_mov_b32_dpp v2, v1 row_bcast:31 row_mask:0xf bank_mask:0xf bound_ctrl:1
	v_cmp_lt_f32_e32 vcc, v1, v2
	v_cndmask_b32_e32 v1, v2, v1, vcc
	v_lshlrev_b32_e32 v2, 2, v18
	v_or_b32_e32 v5, 0xfc, v2
	ds_bpermute_b32 v1, v5, v1
	v_cmp_eq_u32_e32 vcc, 0, v18
	s_and_saveexec_b64 s[6:7], vcc
	s_cbranch_execz .LBB2_114
; %bb.113:                              ;   in Loop: Header=BB2_14 Depth=1
	s_waitcnt lgkmcnt(0)
	ds_write_b32 v10, v1
.LBB2_114:                              ;   in Loop: Header=BB2_14 Depth=1
	s_or_b64 exec, exec, s[6:7]
	v_and_b32_e32 v3, 15, v18
	v_or_b32_e32 v2, 32, v2
	s_waitcnt lgkmcnt(1)
	v_lshlrev_b32_e32 v4, 2, v3
	s_waitcnt vmcnt(0) lgkmcnt(0)
	s_barrier
	s_and_saveexec_b64 s[30:31], s[4:5]
	s_cbranch_execz .LBB2_116
; %bb.115:                              ;   in Loop: Header=BB2_14 Depth=1
	ds_read_b32 v1, v4 offset:25472
	v_cmp_ne_u32_e64 s[6:7], 15, v3
	v_addc_co_u32_e64 v6, s[6:7], 0, v18, s[6:7]
	v_lshlrev_b32_e32 v6, 2, v6
	s_waitcnt lgkmcnt(0)
	ds_bpermute_b32 v6, v6, v1
	v_cmp_gt_u32_e64 s[6:7], 14, v3
	v_cndmask_b32_e64 v22, 0, 2, s[6:7]
	v_add_lshl_u32 v22, v22, v18, 2
	s_waitcnt lgkmcnt(0)
	v_cmp_gt_f32_e64 s[6:7], v1, v6
	v_cndmask_b32_e64 v1, v1, v6, s[6:7]
	ds_bpermute_b32 v6, v22, v1
	v_cmp_gt_u32_e64 s[6:7], 12, v3
	v_cndmask_b32_e64 v22, 0, 4, s[6:7]
	v_add_lshl_u32 v22, v22, v18, 2
	s_waitcnt lgkmcnt(0)
	v_cmp_gt_f32_e64 s[6:7], v1, v6
	v_cndmask_b32_e64 v1, v1, v6, s[6:7]
	ds_bpermute_b32 v6, v22, v1
	s_waitcnt lgkmcnt(0)
	v_cmp_gt_f32_e64 s[6:7], v1, v6
	v_cndmask_b32_e64 v1, v1, v6, s[6:7]
	ds_bpermute_b32 v6, v2, v1
	s_waitcnt lgkmcnt(0)
	v_cmp_gt_f32_e64 s[6:7], v1, v6
	v_cndmask_b32_e64 v1, v1, v6, s[6:7]
.LBB2_116:                              ;   in Loop: Header=BB2_14 Depth=1
	s_or_b64 exec, exec, s[30:31]
	v_mov_b32_dpp v6, v21 quad_perm:[1,0,3,2] row_mask:0xf bank_mask:0xf bound_ctrl:1
	v_cmp_gt_f32_e64 s[6:7], v21, v6
	v_cndmask_b32_e64 v6, v6, v21, s[6:7]
	s_nop 1
	v_mov_b32_dpp v21, v6 quad_perm:[2,3,0,1] row_mask:0xf bank_mask:0xf bound_ctrl:1
	v_cmp_gt_f32_e64 s[6:7], v6, v21
	v_cndmask_b32_e64 v6, v21, v6, s[6:7]
	s_nop 1
	v_mov_b32_dpp v21, v6 row_ror:4 row_mask:0xf bank_mask:0xf bound_ctrl:1
	v_cmp_gt_f32_e64 s[6:7], v6, v21
	v_cndmask_b32_e64 v6, v21, v6, s[6:7]
	s_nop 1
	v_mov_b32_dpp v21, v6 row_ror:8 row_mask:0xf bank_mask:0xf bound_ctrl:1
	v_cmp_gt_f32_e64 s[6:7], v6, v21
	v_cndmask_b32_e64 v6, v21, v6, s[6:7]
	s_nop 1
	v_mov_b32_dpp v21, v6 row_bcast:15 row_mask:0xf bank_mask:0xf bound_ctrl:1
	v_cmp_gt_f32_e64 s[6:7], v6, v21
	v_cndmask_b32_e64 v6, v21, v6, s[6:7]
	s_nop 1
	v_mov_b32_dpp v21, v6 row_bcast:31 row_mask:0xf bank_mask:0xf bound_ctrl:1
	v_cmp_gt_f32_e64 s[6:7], v6, v21
	v_cndmask_b32_e64 v6, v21, v6, s[6:7]
	ds_bpermute_b32 v5, v5, v6
	s_and_saveexec_b64 s[6:7], vcc
	s_cbranch_execz .LBB2_118
; %bb.117:                              ;   in Loop: Header=BB2_14 Depth=1
	s_waitcnt lgkmcnt(0)
	ds_write_b32 v10, v5
.LBB2_118:                              ;   in Loop: Header=BB2_14 Depth=1
	s_or_b64 exec, exec, s[6:7]
	s_waitcnt lgkmcnt(0)
	s_barrier
	s_and_saveexec_b64 s[6:7], s[4:5]
	s_cbranch_execz .LBB2_120
; %bb.119:                              ;   in Loop: Header=BB2_14 Depth=1
	ds_read_b32 v4, v4 offset:25472
	v_cmp_ne_u32_e32 vcc, 15, v3
	v_addc_co_u32_e32 v5, vcc, 0, v18, vcc
	v_lshlrev_b32_e32 v5, 2, v5
	s_waitcnt lgkmcnt(0)
	ds_bpermute_b32 v5, v5, v4
	v_cmp_gt_u32_e32 vcc, 14, v3
	v_cndmask_b32_e64 v6, 0, 2, vcc
	v_add_lshl_u32 v6, v6, v18, 2
	s_waitcnt lgkmcnt(0)
	v_cmp_lt_f32_e32 vcc, v4, v5
	v_cndmask_b32_e32 v4, v4, v5, vcc
	ds_bpermute_b32 v5, v6, v4
	v_cmp_gt_u32_e32 vcc, 12, v3
	v_cndmask_b32_e64 v3, 0, 4, vcc
	v_add_lshl_u32 v3, v3, v18, 2
	s_waitcnt lgkmcnt(0)
	v_cmp_lt_f32_e32 vcc, v4, v5
	v_cndmask_b32_e32 v4, v4, v5, vcc
	ds_bpermute_b32 v3, v3, v4
	s_waitcnt lgkmcnt(0)
	v_cmp_lt_f32_e32 vcc, v4, v3
	v_cndmask_b32_e32 v3, v4, v3, vcc
	ds_bpermute_b32 v2, v2, v3
	s_waitcnt lgkmcnt(0)
	v_cmp_lt_f32_e32 vcc, v3, v2
	v_cndmask_b32_e32 v5, v3, v2, vcc
.LBB2_120:                              ;   in Loop: Header=BB2_14 Depth=1
	s_or_b64 exec, exec, s[6:7]
	s_and_saveexec_b64 s[6:7], s[2:3]
	s_cbranch_execz .LBB2_122
; %bb.121:                              ;   in Loop: Header=BB2_14 Depth=1
	v_cmp_gt_f32_e32 vcc, 0, v1
	v_cndmask_b32_e64 v2, v19, 0, vcc
	v_cmp_gt_f32_e32 vcc, 0, v5
	v_xor_b32_e32 v1, v2, v1
	v_cndmask_b32_e64 v3, v19, 0, vcc
	v_xor_b32_e32 v1, v1, v5
	v_xor_b32_e32 v1, v1, v3
	v_cmp_gt_u32_e32 vcc, s61, v1
	v_cndmask_b32_e64 v1, 0, 1, vcc
	ds_write_b8 v9, v1 offset:25536
.LBB2_122:                              ;   in Loop: Header=BB2_14 Depth=1
	s_or_b64 exec, exec, s[6:7]
	s_waitcnt lgkmcnt(0)
	s_barrier
	ds_read_u8 v1, v9 offset:25536
	s_waitcnt lgkmcnt(0)
	v_readfirstlane_b32 s6, v1
	s_bitcmp1_b32 s6, 0
	s_cselect_b64 s[34:35], -1, 0
.LBB2_123:                              ;   in Loop: Header=BB2_14 Depth=1
	s_and_b64 s[6:7], s[34:35], exec
	s_cselect_b32 s18, 0x800, 0
	v_or_b32_e32 v1, s18, v0
	v_lshlrev_b32_e32 v3, 2, v1
	v_add_u32_e32 v1, 0x280, v3
	v_mov_b32_e32 v2, s21
	s_waitcnt vmcnt(0) lgkmcnt(0)
	s_barrier
	flat_load_dword v5, v[1:2] glc
	s_waitcnt vmcnt(0)
	v_add_u32_e32 v3, 0x1280, v3
	v_mov_b32_e32 v4, s21
	flat_load_dword v6, v[3:4] glc
	s_waitcnt vmcnt(0) lgkmcnt(0)
	ds_write_b32 v7, v5
	ds_write_b32 v8, v6 offset:4096
	s_waitcnt lgkmcnt(0)
	s_barrier
	ds_read2_b32 v[5:6], v20 offset1:1
	s_waitcnt lgkmcnt(0)
	s_barrier
	v_add_u32_e32 v21, v6, v5
	ds_write_b32 v7, v21
	s_waitcnt lgkmcnt(0)
	s_barrier
	s_and_saveexec_b64 s[6:7], s[4:5]
	s_cbranch_execz .LBB2_125
; %bb.124:                              ;   in Loop: Header=BB2_14 Depth=1
	ds_read2_b32 v[22:23], v17 offset1:1
	s_waitcnt lgkmcnt(0)
	v_add_u32_e32 v25, v23, v22
	ds_read2_b32 v[23:24], v17 offset0:2 offset1:3
	s_waitcnt lgkmcnt(0)
	v_add3_u32 v25, v25, v23, v24
	ds_read2_b32 v[23:24], v17 offset0:4 offset1:5
	s_waitcnt lgkmcnt(0)
	v_add3_u32 v25, v25, v23, v24
	;; [unrolled: 3-line block ×6, first 2 shown]
	ds_read2_b32 v[23:24], v17 offset0:14 offset1:15
	; wave barrier
	s_waitcnt lgkmcnt(0)
	v_add3_u32 v23, v25, v23, v24
	v_and_b32_e32 v24, 15, v18
	s_nop 0
	v_mov_b32_dpp v25, v23 row_shr:1 row_mask:0xf bank_mask:0xf
	v_cmp_ne_u32_e32 vcc, 0, v24
	v_cndmask_b32_e32 v25, 0, v25, vcc
	v_add_u32_e32 v23, v25, v23
	v_cmp_lt_u32_e32 vcc, 1, v24
	s_nop 0
	v_mov_b32_dpp v25, v23 row_shr:2 row_mask:0xf bank_mask:0xf
	v_cndmask_b32_e32 v25, 0, v25, vcc
	v_add_u32_e32 v23, v23, v25
	v_cmp_lt_u32_e32 vcc, 3, v24
	s_nop 0
	v_mov_b32_dpp v25, v23 row_shr:4 row_mask:0xf bank_mask:0xf
	;; [unrolled: 5-line block ×3, first 2 shown]
	v_cndmask_b32_e32 v24, 0, v25, vcc
	v_add_u32_e32 v23, v23, v24
	v_bfe_i32 v25, v18, 4, 1
	v_cmp_lt_u32_e32 vcc, 31, v18
	v_mov_b32_dpp v24, v23 row_bcast:15 row_mask:0xf bank_mask:0xf
	v_and_b32_e32 v24, v25, v24
	v_add_u32_e32 v23, v23, v24
	v_and_b32_e32 v25, 64, v18
	s_nop 0
	v_mov_b32_dpp v24, v23 row_bcast:31 row_mask:0xf bank_mask:0xf
	v_cndmask_b32_e32 v24, 0, v24, vcc
	v_add_u32_e32 v23, v23, v24
	v_add_u32_e32 v24, -1, v18
	v_cmp_lt_i32_e32 vcc, v24, v25
	v_cndmask_b32_e32 v24, v24, v18, vcc
	v_lshlrev_b32_e32 v24, 2, v24
	ds_bpermute_b32 v23, v24, v23
	s_waitcnt lgkmcnt(0)
	v_add_u32_e32 v22, v23, v22
	v_cndmask_b32_e64 v24, v22, v21, s[2:3]
	ds_write_b32 v17, v24
	; wave barrier
	ds_read2_b32 v[22:23], v17 offset0:1 offset1:2
	s_waitcnt lgkmcnt(0)
	v_add_u32_e32 v22, v22, v24
	v_add_u32_e32 v24, v23, v22
	ds_write2_b32 v17, v22, v24 offset0:1 offset1:2
	ds_read2_b32 v[22:23], v17 offset0:3 offset1:4
	s_waitcnt lgkmcnt(0)
	v_add_u32_e32 v22, v22, v24
	v_add_u32_e32 v24, v23, v22
	ds_write2_b32 v17, v22, v24 offset0:3 offset1:4
	;; [unrolled: 5-line block ×7, first 2 shown]
	ds_read_b32 v22, v17 offset:60
	s_waitcnt lgkmcnt(0)
	v_add_u32_e32 v22, v22, v23
	ds_write_b32 v17, v22 offset:60
.LBB2_125:                              ;   in Loop: Header=BB2_14 Depth=1
	s_or_b64 exec, exec, s[6:7]
	s_waitcnt lgkmcnt(0)
	s_barrier
	s_and_saveexec_b64 s[6:7], s[0:1]
	s_cbranch_execz .LBB2_127
; %bb.126:                              ;   in Loop: Header=BB2_14 Depth=1
	ds_read_b32 v21, v11
	;;#ASMSTART
	;;#ASMEND
	s_waitcnt lgkmcnt(0)
	v_add_u32_e32 v5, v21, v5
	v_add_u32_e32 v21, v5, v6
.LBB2_127:                              ;   in Loop: Header=BB2_14 Depth=1
	s_or_b64 exec, exec, s[6:7]
	s_barrier
	ds_write2_b32 v20, v5, v21 offset1:1
	s_waitcnt lgkmcnt(0)
	s_barrier
	ds_read_b32 v5, v7
	ds_read_b32 v6, v8 offset:4096
	s_and_b64 s[6:7], s[34:35], exec
	s_waitcnt lgkmcnt(1)
	flat_store_dword v[1:2], v5
	s_waitcnt vmcnt(0) lgkmcnt(0)
	flat_store_dword v[3:4], v6
	s_waitcnt vmcnt(0) lgkmcnt(0)
	s_barrier
	s_cselect_b32 s6, 3, 0
	ds_read_b32 v1, v9 offset:12
	s_add_i32 s6, s6, s62
	s_mul_i32 s6, s6, -11
	s_max_i32 s36, s6, 0xffffffeb
	s_add_i32 s36, s36, 21
	v_lshl_add_u32 v2, s18, 2, v13
	s_mov_b64 s[30:31], 0
	v_mov_b32_e32 v3, v0
	s_branch .LBB2_129
.LBB2_128:                              ;   in Loop: Header=BB2_129 Depth=2
	s_or_b64 exec, exec, s[6:7]
	v_add_u32_e32 v3, s54, v3
	v_cmp_lt_u32_e32 vcc, s60, v3
	s_or_b64 s[30:31], vcc, s[30:31]
	v_add_u32_e32 v2, s58, v2
	s_andn2_b64 exec, exec, s[30:31]
	s_cbranch_execz .LBB2_133
.LBB2_129:                              ;   Parent Loop BB2_14 Depth=1
                                        ; =>  This Inner Loop Header: Depth=2
	v_mov_b32_e32 v4, 0
	v_cmp_ne_u32_e32 vcc, 0, v3
	s_and_saveexec_b64 s[6:7], vcc
; %bb.130:                              ;   in Loop: Header=BB2_129 Depth=2
	ds_read_b32 v4, v2
; %bb.131:                              ;   in Loop: Header=BB2_129 Depth=2
	s_or_b64 exec, exec, s[6:7]
	ds_read_b32 v5, v2 offset:4
	s_waitcnt lgkmcnt(1)
	v_cmp_gt_i32_e32 vcc, s63, v4
	s_waitcnt lgkmcnt(0)
	v_cmp_le_i32_e64 s[6:7], s63, v5
	s_and_b64 s[38:39], vcc, s[6:7]
	s_and_saveexec_b64 s[6:7], s[38:39]
	s_cbranch_execz .LBB2_128
; %bb.132:                              ;   in Loop: Header=BB2_129 Depth=2
	v_sub_u32_e32 v21, s63, v4
	v_sub_u32_e32 v22, v5, v4
	v_lshl_or_b32 v1, v3, s36, v1
	ds_write_b64 v9, v[21:22]
	ds_write_b32 v9, v1 offset:12
	s_branch .LBB2_128
.LBB2_133:                              ;   in Loop: Header=BB2_14 Depth=1
	s_or_b64 exec, exec, s[30:31]
	s_and_saveexec_b64 s[6:7], s[2:3]
; %bb.134:                              ;   in Loop: Header=BB2_14 Depth=1
	v_mov_b32_e32 v1, s57
	ds_write_b32 v9, v1 offset:8
; %bb.135:                              ;   in Loop: Header=BB2_14 Depth=1
	s_or_b64 exec, exec, s[6:7]
	s_cmp_lg_u32 s62, 2
	s_cselect_b64 s[30:31], -1, 0
	s_xor_b64 s[36:37], s[34:35], -1
	s_and_b64 s[30:31], s[30:31], s[36:37]
	s_mov_b64 s[6:7], -1
	s_and_b64 vcc, exec, s[30:31]
	s_mov_b64 s[30:31], -1
	s_waitcnt lgkmcnt(0)
	s_barrier
                                        ; implicit-def: $vgpr2
	s_cbranch_vccz .LBB2_13
; %bb.136:                              ;   in Loop: Header=BB2_14 Depth=1
	ds_read_b64 v[1:2], v9
	s_add_i32 s62, s62, 1
	s_mov_b64 s[6:7], 0
	s_waitcnt lgkmcnt(0)
	v_cmp_eq_u32_e64 s[30:31], v2, v1
	s_branch .LBB2_13
.LBB2_137:
	s_andn2_b64 vcc, exec, s[6:7]
	s_mov_b64 s[0:1], -1
	s_cbranch_vccz .LBB2_171
; %bb.138:
	v_mov_b32_e32 v1, 0
	ds_read_b32 v1, v1 offset:12
	s_and_b64 s[0:1], s[12:13], exec
	s_cselect_b32 s0, 0, s10
	s_cselect_b32 s1, 0, s11
	s_cmp_eq_u64 s[16:17], 0
	s_cselect_b32 s3, s9, s1
	s_cselect_b32 s2, s8, s0
	;; [unrolled: 1-line block ×5, first 2 shown]
	s_cmp_eq_u64 s[2:3], 0
	v_cmp_gt_i32_e64 s[0:1], s27, v0
	s_cbranch_scc1 .LBB2_154
; %bb.139:
	s_and_saveexec_b64 s[4:5], s[0:1]
	s_cbranch_execz .LBB2_153
; %bb.140:
	s_lshl_b32 s29, -1, s56
	s_mov_b64 s[6:7], 0
	v_mov_b32_e32 v6, s28
	v_bfrev_b32_e32 v7, -2
	v_mov_b32_e32 v8, 0
	v_mov_b32_e32 v3, v0
	s_branch .LBB2_143
.LBB2_141:                              ;   in Loop: Header=BB2_143 Depth=1
	s_or_b64 exec, exec, s[20:21]
	v_mov_b32_e32 v12, s3
	s_waitcnt vmcnt(0)
	v_add_co_u32_e32 v4, vcc, s2, v4
	v_addc_co_u32_e32 v5, vcc, v12, v5, vcc
	global_load_dword v12, v[4:5], off
	s_waitcnt lgkmcnt(0)
	v_readfirstlane_b32 s20, v11
	v_add_u32_e32 v4, s20, v10
	v_ashrrev_i32_e32 v5, 31, v4
	v_lshlrev_b64 v[4:5], 2, v[4:5]
	v_mov_b32_e32 v11, s51
	v_add_co_u32_e32 v10, vcc, s50, v4
	v_addc_co_u32_e32 v11, vcc, v11, v5, vcc
	global_store_dword v[10:11], v9, off
	v_mov_b32_e32 v9, s53
	v_add_co_u32_e32 v4, vcc, s52, v4
	v_addc_co_u32_e32 v5, vcc, v9, v5, vcc
	s_waitcnt vmcnt(1)
	global_store_dword v[4:5], v12, off
.LBB2_142:                              ;   in Loop: Header=BB2_143 Depth=1
	s_or_b64 exec, exec, s[18:19]
	v_add_u32_e32 v3, s54, v3
	v_cmp_le_i32_e32 vcc, s27, v3
	s_or_b64 s[6:7], vcc, s[6:7]
	s_andn2_b64 exec, exec, s[6:7]
	s_cbranch_execz .LBB2_153
.LBB2_143:                              ; =>This Inner Loop Header: Depth=1
	s_waitcnt vmcnt(0)
	v_ashrrev_i32_e32 v4, 31, v3
	v_lshlrev_b64 v[4:5], 2, v[3:4]
	v_add_co_u32_e32 v9, vcc, s26, v4
	v_addc_co_u32_e32 v10, vcc, v6, v5, vcc
	global_load_dword v9, v[9:10], off
	s_waitcnt vmcnt(0)
	v_cmp_gt_f32_e32 vcc, 0, v9
	v_cndmask_b32_e64 v10, v7, 0, vcc
	v_xor_b32_e32 v10, v10, v9
	v_and_b32_e32 v10, s29, v10
	s_waitcnt lgkmcnt(0)
	v_cmp_ge_u32_e32 vcc, v10, v1
	s_and_saveexec_b64 s[18:19], vcc
	s_xor_b64 s[18:19], exec, s[18:19]
	s_cbranch_execz .LBB2_150
; %bb.144:                              ;   in Loop: Header=BB2_143 Depth=1
	v_cmp_eq_u32_e32 vcc, v10, v1
	s_and_saveexec_b64 s[20:21], vcc
	s_cbranch_execz .LBB2_149
; %bb.145:                              ;   in Loop: Header=BB2_143 Depth=1
	v_mov_b32_e32 v10, s3
	v_add_co_u32_e32 v4, vcc, s2, v4
	v_addc_co_u32_e32 v5, vcc, v10, v5, vcc
	global_load_dword v4, v[4:5], off
	s_mov_b64 s[22:23], exec
	v_mbcnt_lo_u32_b32 v5, s22, 0
	v_mbcnt_hi_u32_b32 v5, s23, v5
	v_cmp_eq_u32_e32 vcc, 0, v5
                                        ; implicit-def: $vgpr10
	s_and_saveexec_b64 s[24:25], vcc
; %bb.146:                              ;   in Loop: Header=BB2_143 Depth=1
	s_bcnt1_i32_b64 s22, s[22:23]
	v_mov_b32_e32 v10, s22
	ds_add_rtn_u32 v10, v8, v10 offset:512
; %bb.147:                              ;   in Loop: Header=BB2_143 Depth=1
	s_or_b64 exec, exec, s[24:25]
	s_waitcnt lgkmcnt(0)
	v_readfirstlane_b32 s22, v10
	v_add_u32_e32 v5, s22, v5
	v_cmp_lt_i32_e32 vcc, v5, v2
	s_and_b64 exec, exec, vcc
	s_cbranch_execz .LBB2_149
; %bb.148:                              ;   in Loop: Header=BB2_143 Depth=1
	v_xad_u32 v10, v5, -1, s33
	v_ashrrev_i32_e32 v11, 31, v10
	v_lshlrev_b64 v[10:11], 2, v[10:11]
	v_mov_b32_e32 v5, s51
	v_add_co_u32_e32 v12, vcc, s50, v10
	v_addc_co_u32_e32 v13, vcc, v5, v11, vcc
	v_mov_b32_e32 v5, s53
	v_add_co_u32_e32 v10, vcc, s52, v10
	v_addc_co_u32_e32 v11, vcc, v5, v11, vcc
	global_store_dword v[12:13], v9, off
	s_waitcnt vmcnt(1)
	global_store_dword v[10:11], v4, off
.LBB2_149:                              ;   in Loop: Header=BB2_143 Depth=1
	s_or_b64 exec, exec, s[20:21]
                                        ; implicit-def: $vgpr9
                                        ; implicit-def: $vgpr4_vgpr5
.LBB2_150:                              ;   in Loop: Header=BB2_143 Depth=1
	s_andn2_saveexec_b64 s[18:19], s[18:19]
	s_cbranch_execz .LBB2_142
; %bb.151:                              ;   in Loop: Header=BB2_143 Depth=1
	s_mov_b64 s[22:23], exec
	v_mbcnt_lo_u32_b32 v10, s22, 0
	v_mbcnt_hi_u32_b32 v10, s23, v10
	v_cmp_eq_u32_e32 vcc, 0, v10
                                        ; implicit-def: $vgpr11
	s_and_saveexec_b64 s[20:21], vcc
	s_cbranch_execz .LBB2_141
; %bb.152:                              ;   in Loop: Header=BB2_143 Depth=1
	s_bcnt1_i32_b64 s22, s[22:23]
	v_mov_b32_e32 v11, s22
	ds_add_rtn_u32 v11, v8, v11 offset:384
	s_branch .LBB2_141
.LBB2_153:
	s_or_b64 exec, exec, s[4:5]
	s_cbranch_execz .LBB2_155
	s_branch .LBB2_170
.LBB2_154:
.LBB2_155:
	s_and_saveexec_b64 s[2:3], s[0:1]
	s_cbranch_execz .LBB2_169
; %bb.156:
	s_lshl_b32 s22, -1, s56
	s_mov_b64 s[0:1], 0
	v_mov_b32_e32 v5, s28
	v_bfrev_b32_e32 v6, -2
	v_mov_b32_e32 v7, 0
	v_mov_b32_e32 v3, v0
	s_branch .LBB2_159
.LBB2_157:                              ;   in Loop: Header=BB2_159 Depth=1
	s_or_b64 exec, exec, s[6:7]
	s_waitcnt lgkmcnt(0)
	v_readfirstlane_b32 s6, v9
	v_add_u32_e32 v8, s6, v8
	v_ashrrev_i32_e32 v9, 31, v8
	v_lshlrev_b64 v[8:9], 2, v[8:9]
	v_mov_b32_e32 v11, s51
	v_add_co_u32_e32 v10, vcc, s50, v8
	v_addc_co_u32_e32 v11, vcc, v11, v9, vcc
	global_store_dword v[10:11], v4, off
	v_mov_b32_e32 v4, s53
	v_add_co_u32_e32 v8, vcc, s52, v8
	v_addc_co_u32_e32 v9, vcc, v4, v9, vcc
	global_store_dword v[8:9], v3, off
.LBB2_158:                              ;   in Loop: Header=BB2_159 Depth=1
	s_or_b64 exec, exec, s[4:5]
	v_add_u32_e32 v3, s54, v3
	v_cmp_le_i32_e32 vcc, s27, v3
	s_or_b64 s[0:1], vcc, s[0:1]
	s_andn2_b64 exec, exec, s[0:1]
	s_cbranch_execz .LBB2_169
.LBB2_159:                              ; =>This Inner Loop Header: Depth=1
	s_waitcnt vmcnt(0)
	v_ashrrev_i32_e32 v4, 31, v3
	v_lshlrev_b64 v[8:9], 2, v[3:4]
	v_add_co_u32_e32 v8, vcc, s26, v8
	v_addc_co_u32_e32 v9, vcc, v5, v9, vcc
	global_load_dword v4, v[8:9], off
	s_waitcnt vmcnt(0)
	v_cmp_gt_f32_e32 vcc, 0, v4
	v_cndmask_b32_e64 v8, v6, 0, vcc
	v_xor_b32_e32 v8, v8, v4
	v_and_b32_e32 v8, s22, v8
	s_waitcnt lgkmcnt(0)
	v_cmp_ge_u32_e32 vcc, v8, v1
	s_and_saveexec_b64 s[4:5], vcc
	s_xor_b64 s[4:5], exec, s[4:5]
	s_cbranch_execz .LBB2_166
; %bb.160:                              ;   in Loop: Header=BB2_159 Depth=1
	v_cmp_eq_u32_e32 vcc, v8, v1
	s_and_saveexec_b64 s[6:7], vcc
	s_cbranch_execz .LBB2_165
; %bb.161:                              ;   in Loop: Header=BB2_159 Depth=1
	s_mov_b64 s[20:21], exec
	v_mbcnt_lo_u32_b32 v8, s20, 0
	v_mbcnt_hi_u32_b32 v8, s21, v8
	v_cmp_eq_u32_e32 vcc, 0, v8
                                        ; implicit-def: $vgpr9
	s_and_saveexec_b64 s[18:19], vcc
; %bb.162:                              ;   in Loop: Header=BB2_159 Depth=1
	s_bcnt1_i32_b64 s20, s[20:21]
	v_mov_b32_e32 v9, s20
	ds_add_rtn_u32 v9, v7, v9 offset:512
; %bb.163:                              ;   in Loop: Header=BB2_159 Depth=1
	s_or_b64 exec, exec, s[18:19]
	s_waitcnt lgkmcnt(0)
	v_readfirstlane_b32 s18, v9
	v_add_u32_e32 v8, s18, v8
	v_cmp_lt_i32_e32 vcc, v8, v2
	s_and_b64 exec, exec, vcc
	s_cbranch_execz .LBB2_165
; %bb.164:                              ;   in Loop: Header=BB2_159 Depth=1
	v_xad_u32 v8, v8, -1, s33
	v_ashrrev_i32_e32 v9, 31, v8
	v_lshlrev_b64 v[8:9], 2, v[8:9]
	v_mov_b32_e32 v11, s51
	v_add_co_u32_e32 v10, vcc, s50, v8
	v_addc_co_u32_e32 v11, vcc, v11, v9, vcc
	v_mov_b32_e32 v12, s53
	v_add_co_u32_e32 v8, vcc, s52, v8
	v_addc_co_u32_e32 v9, vcc, v12, v9, vcc
	global_store_dword v[10:11], v4, off
	global_store_dword v[8:9], v3, off
.LBB2_165:                              ;   in Loop: Header=BB2_159 Depth=1
	s_or_b64 exec, exec, s[6:7]
                                        ; implicit-def: $vgpr4
.LBB2_166:                              ;   in Loop: Header=BB2_159 Depth=1
	s_andn2_saveexec_b64 s[4:5], s[4:5]
	s_cbranch_execz .LBB2_158
; %bb.167:                              ;   in Loop: Header=BB2_159 Depth=1
	s_mov_b64 s[18:19], exec
	v_mbcnt_lo_u32_b32 v8, s18, 0
	v_mbcnt_hi_u32_b32 v8, s19, v8
	v_cmp_eq_u32_e32 vcc, 0, v8
                                        ; implicit-def: $vgpr9
	s_and_saveexec_b64 s[6:7], vcc
	s_cbranch_execz .LBB2_157
; %bb.168:                              ;   in Loop: Header=BB2_159 Depth=1
	s_bcnt1_i32_b64 s18, s[18:19]
	v_mov_b32_e32 v9, s18
	ds_add_rtn_u32 v9, v7, v9 offset:384
	s_branch .LBB2_157
.LBB2_169:
	s_or_b64 exec, exec, s[2:3]
.LBB2_170:
	s_mov_b64 s[0:1], 0
.LBB2_171:
	s_andn2_b64 vcc, exec, s[0:1]
	s_cbranch_vccnz .LBB2_211
; %bb.172:
	s_waitcnt lgkmcnt(0)
	v_mov_b32_e32 v1, 0
	s_xor_b64 s[4:5], s[34:35], -1
	ds_read2_b32 v[2:3], v1 offset1:3
	s_and_b64 s[0:1], s[12:13], exec
	s_cselect_b32 s0, 0, s10
	s_cselect_b32 s1, 0, s11
	s_cmp_eq_u64 s[16:17], 0
	s_cselect_b32 s7, s9, s1
	s_cselect_b32 s6, s8, s0
	;; [unrolled: 1-line block ×5, first 2 shown]
	s_cmp_eq_u64 s[6:7], 0
	v_cmp_gt_i32_e64 s[0:1], s19, v0
	s_cbranch_scc1 .LBB2_192
; %bb.173:
	s_and_saveexec_b64 s[8:9], s[0:1]
	s_cbranch_execz .LBB2_191
; %bb.174:
	s_lshl_b32 s21, -1, s56
	s_mov_b64 s[10:11], 0
	v_mov_b32_e32 v1, s20
	v_mov_b32_e32 v7, 0
	v_bfrev_b32_e32 v8, -2
	v_mov_b32_e32 v9, 0x7ff
	s_waitcnt vmcnt(0)
	v_mov_b32_e32 v4, v0
	s_branch .LBB2_177
.LBB2_175:                              ;   in Loop: Header=BB2_177 Depth=1
	s_or_b64 exec, exec, s[12:13]
	v_mov_b32_e32 v13, s7
	s_waitcnt vmcnt(0)
	v_add_co_u32_e32 v5, vcc, s6, v5
	v_addc_co_u32_e32 v6, vcc, v13, v6, vcc
	global_load_dword v13, v[5:6], off
	s_waitcnt lgkmcnt(0)
	v_readfirstlane_b32 s12, v12
	v_add_u32_e32 v5, s12, v11
	v_ashrrev_i32_e32 v6, 31, v5
	v_lshlrev_b64 v[5:6], 2, v[5:6]
	v_mov_b32_e32 v12, s51
	v_add_co_u32_e32 v11, vcc, s50, v5
	v_addc_co_u32_e32 v12, vcc, v12, v6, vcc
	global_store_dword v[11:12], v10, off
	v_mov_b32_e32 v10, s53
	v_add_co_u32_e32 v5, vcc, s52, v5
	v_addc_co_u32_e32 v6, vcc, v10, v6, vcc
	s_waitcnt vmcnt(1)
	global_store_dword v[5:6], v13, off
.LBB2_176:                              ;   in Loop: Header=BB2_177 Depth=1
	s_or_b64 exec, exec, s[2:3]
	v_add_u32_e32 v4, s54, v4
	v_cmp_le_i32_e32 vcc, s19, v4
	s_or_b64 s[10:11], vcc, s[10:11]
	s_andn2_b64 exec, exec, s[10:11]
	s_cbranch_execz .LBB2_191
.LBB2_177:                              ; =>This Inner Loop Header: Depth=1
	s_waitcnt vmcnt(0)
	v_ashrrev_i32_e32 v5, 31, v4
	v_lshlrev_b64 v[5:6], 2, v[4:5]
	s_mov_b64 s[12:13], -1
	v_add_co_u32_e32 v10, vcc, s18, v5
	v_addc_co_u32_e32 v11, vcc, v1, v6, vcc
	global_load_dword v10, v[10:11], off
	s_and_b64 vcc, exec, s[4:5]
                                        ; implicit-def: $vgpr11
	s_waitcnt vmcnt(0)
	v_cmp_gt_f32_e64 s[2:3], 0, v10
	s_cbranch_vccnz .LBB2_181
; %bb.178:                              ;   in Loop: Header=BB2_177 Depth=1
	s_andn2_b64 vcc, exec, s[12:13]
	s_cbranch_vccz .LBB2_182
.LBB2_179:                              ;   in Loop: Header=BB2_177 Depth=1
	s_waitcnt lgkmcnt(0)
	v_cmp_ge_u32_e32 vcc, v11, v3
	s_and_saveexec_b64 s[2:3], vcc
	s_xor_b64 s[2:3], exec, s[2:3]
	s_cbranch_execnz .LBB2_183
.LBB2_180:                              ;   in Loop: Header=BB2_177 Depth=1
	s_andn2_saveexec_b64 s[2:3], s[2:3]
	s_cbranch_execz .LBB2_176
	s_branch .LBB2_189
.LBB2_181:                              ;   in Loop: Header=BB2_177 Depth=1
	v_cndmask_b32_e64 v11, v8, 0, s[2:3]
	v_xor_b32_e32 v11, v11, v10
	v_and_b32_e32 v11, s21, v11
	s_cbranch_execnz .LBB2_179
.LBB2_182:                              ;   in Loop: Header=BB2_177 Depth=1
	v_cndmask_b32_e64 v11, v9, 0, s[2:3]
	v_and_b32_e32 v12, 0x7ff, v10
	v_xor_b32_e32 v11, v11, v12
	s_waitcnt lgkmcnt(0)
	v_cmp_ge_u32_e32 vcc, v11, v3
	s_and_saveexec_b64 s[2:3], vcc
	s_xor_b64 s[2:3], exec, s[2:3]
	s_cbranch_execz .LBB2_180
.LBB2_183:                              ;   in Loop: Header=BB2_177 Depth=1
	v_cmp_eq_u32_e32 vcc, v11, v3
	s_and_saveexec_b64 s[12:13], vcc
	s_cbranch_execz .LBB2_188
; %bb.184:                              ;   in Loop: Header=BB2_177 Depth=1
	v_mov_b32_e32 v11, s7
	v_add_co_u32_e32 v5, vcc, s6, v5
	v_addc_co_u32_e32 v6, vcc, v11, v6, vcc
	global_load_dword v5, v[5:6], off
	s_mov_b64 s[14:15], exec
	v_mbcnt_lo_u32_b32 v6, s14, 0
	v_mbcnt_hi_u32_b32 v6, s15, v6
	v_cmp_eq_u32_e32 vcc, 0, v6
                                        ; implicit-def: $vgpr11
	s_and_saveexec_b64 s[16:17], vcc
; %bb.185:                              ;   in Loop: Header=BB2_177 Depth=1
	s_bcnt1_i32_b64 s14, s[14:15]
	v_mov_b32_e32 v11, s14
	ds_add_rtn_u32 v11, v7, v11 offset:512
; %bb.186:                              ;   in Loop: Header=BB2_177 Depth=1
	s_or_b64 exec, exec, s[16:17]
	s_waitcnt lgkmcnt(0)
	v_readfirstlane_b32 s14, v11
	v_add_u32_e32 v6, s14, v6
	v_cmp_lt_i32_e32 vcc, v6, v2
	s_and_b64 exec, exec, vcc
	s_cbranch_execz .LBB2_188
; %bb.187:                              ;   in Loop: Header=BB2_177 Depth=1
	v_xad_u32 v11, v6, -1, s33
	v_ashrrev_i32_e32 v12, 31, v11
	v_lshlrev_b64 v[11:12], 2, v[11:12]
	v_mov_b32_e32 v6, s51
	v_add_co_u32_e32 v13, vcc, s50, v11
	v_addc_co_u32_e32 v14, vcc, v6, v12, vcc
	v_mov_b32_e32 v6, s53
	v_add_co_u32_e32 v11, vcc, s52, v11
	v_addc_co_u32_e32 v12, vcc, v6, v12, vcc
	global_store_dword v[13:14], v10, off
	s_waitcnt vmcnt(1)
	global_store_dword v[11:12], v5, off
.LBB2_188:                              ;   in Loop: Header=BB2_177 Depth=1
	s_or_b64 exec, exec, s[12:13]
                                        ; implicit-def: $vgpr10
                                        ; implicit-def: $vgpr5_vgpr6
	s_andn2_saveexec_b64 s[2:3], s[2:3]
	s_cbranch_execz .LBB2_176
.LBB2_189:                              ;   in Loop: Header=BB2_177 Depth=1
	s_mov_b64 s[14:15], exec
	v_mbcnt_lo_u32_b32 v11, s14, 0
	v_mbcnt_hi_u32_b32 v11, s15, v11
	v_cmp_eq_u32_e32 vcc, 0, v11
                                        ; implicit-def: $vgpr12
	s_and_saveexec_b64 s[12:13], vcc
	s_cbranch_execz .LBB2_175
; %bb.190:                              ;   in Loop: Header=BB2_177 Depth=1
	s_bcnt1_i32_b64 s14, s[14:15]
	v_mov_b32_e32 v12, s14
	ds_add_rtn_u32 v12, v7, v12 offset:384
	s_branch .LBB2_175
.LBB2_191:
	s_or_b64 exec, exec, s[8:9]
	s_cbranch_execz .LBB2_193
	s_branch .LBB2_211
.LBB2_192:
.LBB2_193:
	s_and_saveexec_b64 s[2:3], s[0:1]
	s_cbranch_execz .LBB2_211
; %bb.194:
	s_lshl_b32 s12, -1, s56
	s_mov_b64 s[2:3], 0
	s_waitcnt vmcnt(0)
	v_mov_b32_e32 v4, s20
	v_mov_b32_e32 v5, 0
	v_bfrev_b32_e32 v6, -2
	v_mov_b32_e32 v7, 0x7ff
	s_branch .LBB2_197
.LBB2_195:                              ;   in Loop: Header=BB2_197 Depth=1
	s_or_b64 exec, exec, s[6:7]
	s_waitcnt lgkmcnt(0)
	v_readfirstlane_b32 s6, v9
	v_add_u32_e32 v8, s6, v8
	v_ashrrev_i32_e32 v9, 31, v8
	v_lshlrev_b64 v[8:9], 2, v[8:9]
	v_mov_b32_e32 v11, s51
	v_add_co_u32_e32 v10, vcc, s50, v8
	v_addc_co_u32_e32 v11, vcc, v11, v9, vcc
	global_store_dword v[10:11], v1, off
	v_mov_b32_e32 v1, s53
	v_add_co_u32_e32 v8, vcc, s52, v8
	v_addc_co_u32_e32 v9, vcc, v1, v9, vcc
	global_store_dword v[8:9], v0, off
.LBB2_196:                              ;   in Loop: Header=BB2_197 Depth=1
	s_or_b64 exec, exec, s[0:1]
	v_add_u32_e32 v0, s54, v0
	v_cmp_le_i32_e32 vcc, s19, v0
	s_or_b64 s[2:3], vcc, s[2:3]
	s_andn2_b64 exec, exec, s[2:3]
	s_cbranch_execz .LBB2_211
.LBB2_197:                              ; =>This Inner Loop Header: Depth=1
	v_ashrrev_i32_e32 v1, 31, v0
	v_lshlrev_b64 v[8:9], 2, v[0:1]
	s_mov_b64 s[6:7], -1
	v_add_co_u32_e32 v8, vcc, s18, v8
	v_addc_co_u32_e32 v9, vcc, v4, v9, vcc
	global_load_dword v1, v[8:9], off
	s_and_b64 vcc, exec, s[4:5]
                                        ; implicit-def: $vgpr8
	s_waitcnt vmcnt(0)
	v_cmp_gt_f32_e64 s[0:1], 0, v1
	s_cbranch_vccnz .LBB2_201
; %bb.198:                              ;   in Loop: Header=BB2_197 Depth=1
	s_andn2_b64 vcc, exec, s[6:7]
	s_cbranch_vccz .LBB2_202
.LBB2_199:                              ;   in Loop: Header=BB2_197 Depth=1
	s_waitcnt lgkmcnt(0)
	v_cmp_ge_u32_e32 vcc, v8, v3
	s_and_saveexec_b64 s[0:1], vcc
	s_xor_b64 s[0:1], exec, s[0:1]
	s_cbranch_execnz .LBB2_203
.LBB2_200:                              ;   in Loop: Header=BB2_197 Depth=1
	s_andn2_saveexec_b64 s[0:1], s[0:1]
	s_cbranch_execz .LBB2_196
	s_branch .LBB2_209
.LBB2_201:                              ;   in Loop: Header=BB2_197 Depth=1
	v_cndmask_b32_e64 v8, v6, 0, s[0:1]
	v_xor_b32_e32 v8, v8, v1
	v_and_b32_e32 v8, s12, v8
	s_cbranch_execnz .LBB2_199
.LBB2_202:                              ;   in Loop: Header=BB2_197 Depth=1
	v_cndmask_b32_e64 v8, v7, 0, s[0:1]
	v_and_b32_e32 v9, 0x7ff, v1
	v_xor_b32_e32 v8, v8, v9
	s_waitcnt lgkmcnt(0)
	v_cmp_ge_u32_e32 vcc, v8, v3
	s_and_saveexec_b64 s[0:1], vcc
	s_xor_b64 s[0:1], exec, s[0:1]
	s_cbranch_execz .LBB2_200
.LBB2_203:                              ;   in Loop: Header=BB2_197 Depth=1
	v_cmp_eq_u32_e32 vcc, v8, v3
	s_and_saveexec_b64 s[6:7], vcc
	s_cbranch_execz .LBB2_208
; %bb.204:                              ;   in Loop: Header=BB2_197 Depth=1
	s_mov_b64 s[10:11], exec
	v_mbcnt_lo_u32_b32 v8, s10, 0
	v_mbcnt_hi_u32_b32 v8, s11, v8
	v_cmp_eq_u32_e32 vcc, 0, v8
                                        ; implicit-def: $vgpr9
	s_and_saveexec_b64 s[8:9], vcc
; %bb.205:                              ;   in Loop: Header=BB2_197 Depth=1
	s_bcnt1_i32_b64 s10, s[10:11]
	v_mov_b32_e32 v9, s10
	ds_add_rtn_u32 v9, v5, v9 offset:512
; %bb.206:                              ;   in Loop: Header=BB2_197 Depth=1
	s_or_b64 exec, exec, s[8:9]
	s_waitcnt lgkmcnt(0)
	v_readfirstlane_b32 s8, v9
	v_add_u32_e32 v8, s8, v8
	v_cmp_lt_i32_e32 vcc, v8, v2
	s_and_b64 exec, exec, vcc
	s_cbranch_execz .LBB2_208
; %bb.207:                              ;   in Loop: Header=BB2_197 Depth=1
	v_xad_u32 v8, v8, -1, s33
	v_ashrrev_i32_e32 v9, 31, v8
	v_lshlrev_b64 v[8:9], 2, v[8:9]
	v_mov_b32_e32 v11, s51
	v_add_co_u32_e32 v10, vcc, s50, v8
	v_addc_co_u32_e32 v11, vcc, v11, v9, vcc
	v_mov_b32_e32 v12, s53
	v_add_co_u32_e32 v8, vcc, s52, v8
	v_addc_co_u32_e32 v9, vcc, v12, v9, vcc
	global_store_dword v[10:11], v1, off
	global_store_dword v[8:9], v0, off
.LBB2_208:                              ;   in Loop: Header=BB2_197 Depth=1
	s_or_b64 exec, exec, s[6:7]
                                        ; implicit-def: $vgpr1
	s_andn2_saveexec_b64 s[0:1], s[0:1]
	s_cbranch_execz .LBB2_196
.LBB2_209:                              ;   in Loop: Header=BB2_197 Depth=1
	s_mov_b64 s[8:9], exec
	v_mbcnt_lo_u32_b32 v8, s8, 0
	v_mbcnt_hi_u32_b32 v8, s9, v8
	v_cmp_eq_u32_e32 vcc, 0, v8
                                        ; implicit-def: $vgpr9
	s_and_saveexec_b64 s[6:7], vcc
	s_cbranch_execz .LBB2_195
; %bb.210:                              ;   in Loop: Header=BB2_197 Depth=1
	s_bcnt1_i32_b64 s8, s[8:9]
	v_mov_b32_e32 v9, s8
	ds_add_rtn_u32 v9, v5, v9 offset:384
	s_branch .LBB2_195
.LBB2_211:
	s_endpgm
	.section	.rodata,"a",@progbits
	.p2align	6, 0x0
	.amdhsa_kernel _Z27radix_topk_one_block_kernelIfiLi11ELi1024ELb1ELb0EL5Phase0EEvPKT_PKT0_lS6_S6_S4_PS1_PS4_bPci
		.amdhsa_group_segment_fixed_size 25540
		.amdhsa_private_segment_fixed_size 0
		.amdhsa_kernarg_size 344
		.amdhsa_user_sgpr_count 6
		.amdhsa_user_sgpr_private_segment_buffer 1
		.amdhsa_user_sgpr_dispatch_ptr 0
		.amdhsa_user_sgpr_queue_ptr 0
		.amdhsa_user_sgpr_kernarg_segment_ptr 1
		.amdhsa_user_sgpr_dispatch_id 0
		.amdhsa_user_sgpr_flat_scratch_init 0
		.amdhsa_user_sgpr_private_segment_size 0
		.amdhsa_uses_dynamic_stack 0
		.amdhsa_system_sgpr_private_segment_wavefront_offset 0
		.amdhsa_system_sgpr_workgroup_id_x 1
		.amdhsa_system_sgpr_workgroup_id_y 0
		.amdhsa_system_sgpr_workgroup_id_z 0
		.amdhsa_system_sgpr_workgroup_info 0
		.amdhsa_system_vgpr_workitem_id 0
		.amdhsa_next_free_vgpr 29
		.amdhsa_next_free_sgpr 67
		.amdhsa_reserve_vcc 1
		.amdhsa_reserve_flat_scratch 0
		.amdhsa_float_round_mode_32 0
		.amdhsa_float_round_mode_16_64 0
		.amdhsa_float_denorm_mode_32 3
		.amdhsa_float_denorm_mode_16_64 3
		.amdhsa_dx10_clamp 1
		.amdhsa_ieee_mode 1
		.amdhsa_fp16_overflow 0
		.amdhsa_exception_fp_ieee_invalid_op 0
		.amdhsa_exception_fp_denorm_src 0
		.amdhsa_exception_fp_ieee_div_zero 0
		.amdhsa_exception_fp_ieee_overflow 0
		.amdhsa_exception_fp_ieee_underflow 0
		.amdhsa_exception_fp_ieee_inexact 0
		.amdhsa_exception_int_div_zero 0
	.end_amdhsa_kernel
	.section	.text._Z27radix_topk_one_block_kernelIfiLi11ELi1024ELb1ELb0EL5Phase0EEvPKT_PKT0_lS6_S6_S4_PS1_PS4_bPci,"axG",@progbits,_Z27radix_topk_one_block_kernelIfiLi11ELi1024ELb1ELb0EL5Phase0EEvPKT_PKT0_lS6_S6_S4_PS1_PS4_bPci,comdat
.Lfunc_end2:
	.size	_Z27radix_topk_one_block_kernelIfiLi11ELi1024ELb1ELb0EL5Phase0EEvPKT_PKT0_lS6_S6_S4_PS1_PS4_bPci, .Lfunc_end2-_Z27radix_topk_one_block_kernelIfiLi11ELi1024ELb1ELb0EL5Phase0EEvPKT_PKT0_lS6_S6_S4_PS1_PS4_bPci
                                        ; -- End function
	.set _Z27radix_topk_one_block_kernelIfiLi11ELi1024ELb1ELb0EL5Phase0EEvPKT_PKT0_lS6_S6_S4_PS1_PS4_bPci.num_vgpr, 27
	.set _Z27radix_topk_one_block_kernelIfiLi11ELi1024ELb1ELb0EL5Phase0EEvPKT_PKT0_lS6_S6_S4_PS1_PS4_bPci.num_agpr, 0
	.set _Z27radix_topk_one_block_kernelIfiLi11ELi1024ELb1ELb0EL5Phase0EEvPKT_PKT0_lS6_S6_S4_PS1_PS4_bPci.numbered_sgpr, 67
	.set _Z27radix_topk_one_block_kernelIfiLi11ELi1024ELb1ELb0EL5Phase0EEvPKT_PKT0_lS6_S6_S4_PS1_PS4_bPci.num_named_barrier, 0
	.set _Z27radix_topk_one_block_kernelIfiLi11ELi1024ELb1ELb0EL5Phase0EEvPKT_PKT0_lS6_S6_S4_PS1_PS4_bPci.private_seg_size, 0
	.set _Z27radix_topk_one_block_kernelIfiLi11ELi1024ELb1ELb0EL5Phase0EEvPKT_PKT0_lS6_S6_S4_PS1_PS4_bPci.uses_vcc, 1
	.set _Z27radix_topk_one_block_kernelIfiLi11ELi1024ELb1ELb0EL5Phase0EEvPKT_PKT0_lS6_S6_S4_PS1_PS4_bPci.uses_flat_scratch, 0
	.set _Z27radix_topk_one_block_kernelIfiLi11ELi1024ELb1ELb0EL5Phase0EEvPKT_PKT0_lS6_S6_S4_PS1_PS4_bPci.has_dyn_sized_stack, 0
	.set _Z27radix_topk_one_block_kernelIfiLi11ELi1024ELb1ELb0EL5Phase0EEvPKT_PKT0_lS6_S6_S4_PS1_PS4_bPci.has_recursion, 0
	.set _Z27radix_topk_one_block_kernelIfiLi11ELi1024ELb1ELb0EL5Phase0EEvPKT_PKT0_lS6_S6_S4_PS1_PS4_bPci.has_indirect_call, 0
	.section	.AMDGPU.csdata,"",@progbits
; Kernel info:
; codeLenInByte = 7408
; TotalNumSgprs: 71
; NumVgprs: 27
; ScratchSize: 0
; MemoryBound: 0
; FloatMode: 240
; IeeeMode: 1
; LDSByteSize: 25540 bytes/workgroup (compile time only)
; SGPRBlocks: 8
; VGPRBlocks: 7
; NumSGPRsForWavesPerEU: 71
; NumVGPRsForWavesPerEU: 29
; Occupancy: 8
; WaveLimiterHint : 0
; COMPUTE_PGM_RSRC2:SCRATCH_EN: 0
; COMPUTE_PGM_RSRC2:USER_SGPR: 6
; COMPUTE_PGM_RSRC2:TRAP_HANDLER: 0
; COMPUTE_PGM_RSRC2:TGID_X_EN: 1
; COMPUTE_PGM_RSRC2:TGID_Y_EN: 0
; COMPUTE_PGM_RSRC2:TGID_Z_EN: 0
; COMPUTE_PGM_RSRC2:TIDIG_COMP_CNT: 0
	.section	.text._Z27radix_topk_one_block_kernelIfiLi11ELi1024ELb0ELb0EL5Phase0EEvPKT_PKT0_lS6_S6_S4_PS1_PS4_bPci,"axG",@progbits,_Z27radix_topk_one_block_kernelIfiLi11ELi1024ELb0ELb0EL5Phase0EEvPKT_PKT0_lS6_S6_S4_PS1_PS4_bPci,comdat
	.protected	_Z27radix_topk_one_block_kernelIfiLi11ELi1024ELb0ELb0EL5Phase0EEvPKT_PKT0_lS6_S6_S4_PS1_PS4_bPci ; -- Begin function _Z27radix_topk_one_block_kernelIfiLi11ELi1024ELb0ELb0EL5Phase0EEvPKT_PKT0_lS6_S6_S4_PS1_PS4_bPci
	.globl	_Z27radix_topk_one_block_kernelIfiLi11ELi1024ELb0ELb0EL5Phase0EEvPKT_PKT0_lS6_S6_S4_PS1_PS4_bPci
	.p2align	8
	.type	_Z27radix_topk_one_block_kernelIfiLi11ELi1024ELb0ELb0EL5Phase0EEvPKT_PKT0_lS6_S6_S4_PS1_PS4_bPci,@function
_Z27radix_topk_one_block_kernelIfiLi11ELi1024ELb0ELb0EL5Phase0EEvPKT_PKT0_lS6_S6_S4_PS1_PS4_bPci: ; @_Z27radix_topk_one_block_kernelIfiLi11ELi1024ELb0ELb0EL5Phase0EEvPKT_PKT0_lS6_S6_S4_PS1_PS4_bPci
; %bb.0:
	s_load_dwordx8 s[12:19], s[4:5], 0x0
	s_load_dwordx2 s[0:1], s[4:5], 0x20
	s_mov_b32 s7, 0
	s_waitcnt lgkmcnt(0)
	s_cmp_eq_u64 s[18:19], 0
	s_cselect_b64 s[2:3], -1, 0
	s_cmp_eq_u64 s[0:1], 0
	s_cselect_b64 s[8:9], -1, 0
	s_or_b64 s[2:3], s[2:3], s[8:9]
	s_and_b64 vcc, exec, s[2:3]
	s_mov_b32 s2, s16
	s_cbranch_vccnz .LBB3_2
; %bb.1:
	s_lshl_b64 s[2:3], s[6:7], 2
	s_add_u32 s0, s0, s2
	s_addc_u32 s1, s1, s3
	s_add_u32 s8, s18, s2
	s_addc_u32 s9, s19, s3
	s_load_dword s7, s[8:9], 0x0
	s_load_dword s2, s[0:1], 0x0
.LBB3_2:
	s_load_dword s33, s[4:5], 0x28
	s_waitcnt lgkmcnt(0)
	s_sub_i32 s53, s2, s7
	v_cmp_ne_u32_e64 s[0:1], 0, v0
	v_cmp_eq_u32_e64 s[2:3], 0, v0
	s_and_saveexec_b64 s[8:9], s[2:3]
	s_cbranch_execz .LBB3_4
; %bb.3:
	v_mov_b32_e32 v4, 0
	v_mov_b32_e32 v1, s33
	;; [unrolled: 1-line block ×4, first 2 shown]
	ds_write_b128 v4, v[1:4]
	ds_write2_b32 v4, v4, v4 offset0:96 offset1:128
.LBB3_4:
	s_or_b64 exec, exec, s[8:9]
	s_load_dwordx2 s[10:11], s[4:5], 0x38
	s_ashr_i32 s8, s33, 31
	s_mul_hi_u32 s9, s33, s6
	s_mul_i32 s8, s8, s6
	s_add_i32 s21, s9, s8
	s_mul_i32 s20, s33, s6
	s_cmp_gt_i32 s53, s33
	s_mov_b64 s[8:9], -1
	s_waitcnt lgkmcnt(0)
	s_barrier
	s_cbranch_scc1 .LBB3_9
; %bb.5:
	v_cmp_gt_i32_e32 vcc, s33, v0
	s_and_saveexec_b64 s[18:19], vcc
	s_cbranch_execz .LBB3_8
; %bb.6:
	s_lshl_b64 s[8:9], s[20:21], 2
	s_add_u32 s8, s10, s8
	v_lshlrev_b32_e32 v1, 2, v0
	s_addc_u32 s9, s11, s9
	v_mov_b32_e32 v2, s9
	v_add_co_u32_e32 v1, vcc, s8, v1
	v_addc_co_u32_e32 v2, vcc, 0, v2, vcc
	s_mov_b64 s[22:23], 0
	v_mov_b32_e32 v3, v0
.LBB3_7:                                ; =>This Inner Loop Header: Depth=1
	v_add_u32_e32 v4, s7, v3
	v_cmp_gt_i32_e32 vcc, s53, v3
	v_add_u32_e32 v3, 0x400, v3
	v_cndmask_b32_e32 v4, -1, v4, vcc
	v_cmp_le_i32_e64 s[8:9], s33, v3
	global_store_dword v[1:2], v4, off
	v_add_co_u32_e32 v1, vcc, 0x1000, v1
	s_or_b64 s[22:23], s[8:9], s[22:23]
	v_addc_co_u32_e32 v2, vcc, 0, v2, vcc
	s_andn2_b64 exec, exec, s[22:23]
	s_cbranch_execnz .LBB3_7
.LBB3_8:
	s_or_b64 exec, exec, s[18:19]
	s_mov_b64 s[8:9], 0
.LBB3_9:
	s_andn2_b64 vcc, exec, s[8:9]
	s_cbranch_vccnz .LBB3_221
; %bb.10:
	s_mul_i32 s7, s17, s6
	s_mul_hi_u32 s8, s16, s6
	s_add_i32 s9, s8, s7
	s_mul_i32 s8, s16, s6
	s_lshl_b64 s[22:23], s[8:9], 2
	s_add_u32 s8, s12, s22
	s_addc_u32 s9, s13, s23
	s_lshl_b64 s[12:13], s[20:21], 2
	s_add_u32 s50, s10, s12
	s_addc_u32 s51, s11, s13
	s_add_u32 s7, s14, s22
	s_addc_u32 s10, s15, s23
	s_cmp_lg_u64 s[14:15], 0
	s_load_dwordx2 s[12:13], s[4:5], 0x48
	s_load_dword s14, s[4:5], 0x64
	s_mov_b64 s[18:19], src_shared_base
	s_cselect_b32 s11, s10, 0
	s_cselect_b32 s10, s7, 0
	s_lshr_b32 s7, s16, 5
	s_and_b32 s18, s7, 0x7ffffc0
	s_mul_hi_u32 s7, s6, s18
	s_mul_i32 s6, s6, s18
	s_lshl_b64 s[4:5], s[6:7], 4
	v_lshrrev_b32_e32 v1, 3, v0
	s_waitcnt lgkmcnt(0)
	s_add_u32 s22, s12, s4
	v_and_b32_e32 v1, 0x7c, v1
	v_lshlrev_b32_e32 v2, 2, v0
	s_movk_i32 s6, 0x4280
	s_addc_u32 s23, s13, s5
	s_and_b32 s52, s14, 0xffff
	v_add3_u32 v7, v2, v1, s6
	v_or_b32_e32 v1, 0x400, v0
	s_lshl_b32 s7, s18, 3
	v_lshrrev_b32_e32 v1, 3, v1
	s_add_u32 s24, s22, s7
	v_and_b32_e32 v1, 0xfc, v1
	s_addc_u32 s25, s23, 0
	s_lshl_b32 s7, s18, 2
	v_add3_u32 v8, v1, v2, s6
	v_lshrrev_b32_e32 v1, 4, v0
	v_mov_b32_e32 v3, 0x4280
	s_sub_u32 s12, 0, s7
	v_mov_b32_e32 v5, 0x6380
	v_lshl_add_u32 v3, v1, 2, v3
	s_subb_u32 s13, 0, 0
	v_and_or_b32 v10, v1, 60, v5
	v_lshlrev_b32_e32 v1, 1, v0
	s_add_u32 s26, s24, s12
	v_and_b32_e32 v1, 0x7fc, v1
	v_add_u32_e32 v6, -1, v0
	s_addc_u32 s27, s25, s13
	v_add_u32_e32 v1, 0x4280, v1
	v_lshlrev_b32_e32 v5, 6, v0
	v_lshrrev_b32_e32 v11, 3, v6
	v_lshlrev_b32_e32 v4, 3, v0
	s_add_u32 s28, s24, s7
	v_and_b32_e32 v11, 0x1ffffffc, v11
	v_lshlrev_b32_e32 v6, 2, v6
	v_add_u32_e32 v17, v1, v5
	v_mbcnt_lo_u32_b32 v1, -1, 0
	s_mov_b32 s21, 0
	v_cmp_gt_u32_e64 s[4:5], 64, v0
	s_addc_u32 s29, s25, 0
	v_mov_b32_e32 v9, 0
	v_add3_u32 v11, v11, v6, s6
	v_add_u32_e32 v12, 0x280, v2
	s_lshl_b32 s56, s52, 2
	v_add_u32_e32 v13, 0x27c, v2
	s_movk_i32 s57, 0xfff
	v_bfrev_b32_e32 v14, -2
	v_mov_b32_e32 v15, 1
	s_movk_i32 s58, 0x7ff
	v_lshlrev_b32_e32 v16, 2, v0
	s_movk_i32 s59, 0x800
	v_mbcnt_hi_u32_b32 v18, -1, v1
	v_mov_b32_e32 v19, 0x7ffff800
	v_add_u32_e32 v20, v3, v4
	s_mov_b32 s60, 0
	s_branch .LBB3_12
.LBB3_11:                               ;   in Loop: Header=BB3_12 Depth=1
	s_andn2_b64 vcc, exec, s[30:31]
	s_cbranch_vccz .LBB3_135
.LBB3_12:                               ; =>This Loop Header: Depth=1
                                        ;     Child Loop BB3_18 Depth 2
                                        ;     Child Loop BB3_28 Depth 2
	;; [unrolled: 1-line block ×6, first 2 shown]
	s_mov_b64 s[6:7], 0
	s_cmp_lt_i32 s60, 1
	s_mov_b64 s[16:17], s[8:9]
	s_mov_b64 s[36:37], 0
	;; [unrolled: 1-line block ×4, first 2 shown]
	s_cbranch_scc1 .LBB3_17
; %bb.13:                               ;   in Loop: Header=BB3_12 Depth=1
	s_cmp_lg_u32 s60, 1
	s_mov_b64 s[12:13], -1
	s_cbranch_scc0 .LBB3_15
; %bb.14:                               ;   in Loop: Header=BB3_12 Depth=1
	s_mov_b64 s[12:13], 0
.LBB3_15:                               ;   in Loop: Header=BB3_12 Depth=1
	s_andn2_b64 vcc, exec, s[12:13]
	s_mov_b64 s[12:13], s[28:29]
	s_mov_b64 s[34:35], s[26:27]
	;; [unrolled: 1-line block ×4, first 2 shown]
	s_cbranch_vccnz .LBB3_17
; %bb.16:                               ;   in Loop: Header=BB3_12 Depth=1
	s_mov_b64 s[12:13], s[24:25]
	s_mov_b64 s[34:35], s[22:23]
	;; [unrolled: 1-line block ×4, first 2 shown]
.LBB3_17:                               ;   in Loop: Header=BB3_12 Depth=1
	ds_read_b96 v[2:4], v9
	v_mov_b32_e32 v1, v12
	s_waitcnt lgkmcnt(0)
	v_readfirstlane_b32 s61, v2
	v_readfirstlane_b32 s55, v3
	;; [unrolled: 1-line block ×3, first 2 shown]
	v_mov_b32_e32 v2, v0
.LBB3_18:                               ;   Parent Loop BB3_12 Depth=1
                                        ; =>  This Inner Loop Header: Depth=2
	v_add_u32_e32 v2, s52, v2
	v_cmp_lt_u32_e32 vcc, s57, v2
	ds_write_b32 v1, v9
	s_or_b64 s[6:7], vcc, s[6:7]
	v_add_u32_e32 v1, s56, v1
	s_andn2_b64 exec, exec, s[6:7]
	s_cbranch_execnz .LBB3_18
; %bb.19:                               ;   in Loop: Header=BB3_12 Depth=1
	s_or_b64 exec, exec, s[6:7]
	s_and_saveexec_b64 s[6:7], s[2:3]
; %bb.20:                               ;   in Loop: Header=BB3_12 Depth=1
	ds_write_b32 v9, v9 offset:128
; %bb.21:                               ;   in Loop: Header=BB3_12 Depth=1
	s_or_b64 exec, exec, s[6:7]
	s_cmp_gt_i32 s20, s18
	s_cselect_b64 s[38:39], -1, 0
	s_cmp_gt_i32 s55, s18
	s_cselect_b64 s[14:15], -1, 0
	s_and_b64 s[6:7], s[38:39], exec
	s_cselect_b32 s31, s9, s17
	s_cselect_b32 s30, s8, s16
	;; [unrolled: 1-line block ×3, first 2 shown]
	s_and_b64 s[6:7], s[14:15], exec
	s_mul_i32 s20, s60, -11
	s_cselect_b32 s17, 0, s35
	s_cselect_b32 s16, 0, s34
	s_max_i32 s54, s20, 0xffffffeb
	s_add_i32 s54, s54, 21
	s_add_i32 s20, s20, 32
	s_sub_i32 s6, s20, s54
	s_lshl_b32 s6, -1, s6
	s_not_b32 s62, s6
	s_cmp_lg_u32 s60, 0
	s_waitcnt vmcnt(0) lgkmcnt(0)
	s_barrier
	s_cbranch_scc0 .LBB3_37
; %bb.22:                               ;   in Loop: Header=BB3_12 Depth=1
	ds_read_b32 v4, v9 offset:12
	s_cmp_lg_u64 s[16:17], 0
	v_cmp_gt_i32_e64 s[6:7], s63, v0
	s_cbranch_scc0 .LBB3_39
; %bb.23:                               ;   in Loop: Header=BB3_12 Depth=1
	s_and_b64 s[38:39], s[38:39], exec
	s_cselect_b32 s37, s11, s37
	s_cselect_b32 s36, s10, s36
	s_cmp_eq_u64 s[36:37], 0
	s_cbranch_scc1 .LBB3_40
; %bb.24:                               ;   in Loop: Header=BB3_12 Depth=1
	s_and_saveexec_b64 s[38:39], s[6:7]
	s_cbranch_execz .LBB3_38
; %bb.25:                               ;   in Loop: Header=BB3_12 Depth=1
	s_lshl_b32 s64, -1, s20
	s_mov_b64 s[40:41], 0
	v_mov_b32_e32 v5, s31
	v_mov_b32_e32 v1, v0
	s_branch .LBB3_28
.LBB3_26:                               ;   in Loop: Header=BB3_28 Depth=2
	s_or_b64 exec, exec, s[44:45]
	v_mov_b32_e32 v24, s37
	v_add_co_u32_e32 v2, vcc, s36, v2
	v_addc_co_u32_e32 v3, vcc, v24, v3, vcc
	global_load_dword v24, v[2:3], off
	s_waitcnt lgkmcnt(0)
	v_readfirstlane_b32 s44, v23
	v_lshrrev_b32_e32 v3, s54, v21
	v_add_u32_e32 v2, s44, v22
	v_and_b32_e32 v26, s62, v3
	v_ashrrev_i32_e32 v3, 31, v2
	v_lshlrev_b64 v[2:3], 2, v[2:3]
	v_mov_b32_e32 v23, s35
	v_add_co_u32_e32 v21, vcc, s34, v2
	v_addc_co_u32_e32 v22, vcc, v23, v3, vcc
	v_mov_b32_e32 v25, s13
	v_add_co_u32_e32 v2, vcc, s12, v2
	v_addc_co_u32_e32 v3, vcc, v25, v3, vcc
	global_store_dword v[21:22], v6, off
	s_waitcnt vmcnt(1)
	global_store_dword v[2:3], v24, off
	v_lshlrev_b32_e32 v2, 2, v26
	ds_add_u32 v2, v15 offset:640
.LBB3_27:                               ;   in Loop: Header=BB3_28 Depth=2
	s_or_b64 exec, exec, s[42:43]
	v_add_u32_e32 v1, s52, v1
	v_cmp_le_i32_e32 vcc, s63, v1
	s_or_b64 s[40:41], vcc, s[40:41]
	s_andn2_b64 exec, exec, s[40:41]
	s_cbranch_execz .LBB3_38
.LBB3_28:                               ;   Parent Loop BB3_12 Depth=1
                                        ; =>  This Inner Loop Header: Depth=2
	v_ashrrev_i32_e32 v2, 31, v1
	v_lshlrev_b64 v[2:3], 2, v[1:2]
	v_add_co_u32_e32 v21, vcc, s30, v2
	v_addc_co_u32_e32 v22, vcc, v5, v3, vcc
	global_load_dword v6, v[21:22], off
	s_waitcnt vmcnt(0)
	v_cmp_gt_f32_e32 vcc, 0, v6
	v_cndmask_b32_e64 v21, v14, 0, vcc
	v_xor_b32_e32 v21, v21, v6
	v_and_b32_e32 v22, s64, v21
	s_waitcnt lgkmcnt(0)
	v_cmp_ne_u32_e32 vcc, v22, v4
	s_and_saveexec_b64 s[42:43], vcc
	s_xor_b64 s[42:43], exec, s[42:43]
	s_cbranch_execz .LBB3_34
; %bb.29:                               ;   in Loop: Header=BB3_28 Depth=2
	v_cmp_lt_u32_e32 vcc, v22, v4
	s_and_saveexec_b64 s[44:45], vcc
	s_cbranch_execz .LBB3_33
; %bb.30:                               ;   in Loop: Header=BB3_28 Depth=2
	s_mov_b64 s[48:49], exec
	v_mbcnt_lo_u32_b32 v6, s48, 0
	v_mbcnt_hi_u32_b32 v6, s49, v6
	v_cmp_eq_u32_e32 vcc, 0, v6
                                        ; implicit-def: $vgpr21
	s_and_saveexec_b64 s[46:47], vcc
; %bb.31:                               ;   in Loop: Header=BB3_28 Depth=2
	s_bcnt1_i32_b64 s48, s[48:49]
	v_mov_b32_e32 v21, s48
	ds_add_rtn_u32 v21, v9, v21 offset:384
; %bb.32:                               ;   in Loop: Header=BB3_28 Depth=2
	s_or_b64 exec, exec, s[46:47]
	v_mov_b32_e32 v22, s37
	v_add_co_u32_e32 v2, vcc, s36, v2
	v_addc_co_u32_e32 v3, vcc, v22, v3, vcc
	global_load_dword v22, v[2:3], off
	s_waitcnt lgkmcnt(0)
	v_readfirstlane_b32 s46, v21
	v_add_u32_e32 v2, s46, v6
	v_ashrrev_i32_e32 v3, 31, v2
	v_lshlrev_b64 v[2:3], 2, v[2:3]
	v_mov_b32_e32 v6, s51
	v_add_co_u32_e32 v2, vcc, s50, v2
	v_addc_co_u32_e32 v3, vcc, v6, v3, vcc
	s_waitcnt vmcnt(0)
	global_store_dword v[2:3], v22, off
.LBB3_33:                               ;   in Loop: Header=BB3_28 Depth=2
	s_or_b64 exec, exec, s[44:45]
                                        ; implicit-def: $vgpr6
                                        ; implicit-def: $vgpr2_vgpr3
                                        ; implicit-def: $vgpr21
.LBB3_34:                               ;   in Loop: Header=BB3_28 Depth=2
	s_andn2_saveexec_b64 s[42:43], s[42:43]
	s_cbranch_execz .LBB3_27
; %bb.35:                               ;   in Loop: Header=BB3_28 Depth=2
	s_mov_b64 s[46:47], exec
	v_mbcnt_lo_u32_b32 v22, s46, 0
	v_mbcnt_hi_u32_b32 v22, s47, v22
	v_cmp_eq_u32_e32 vcc, 0, v22
                                        ; implicit-def: $vgpr23
	s_and_saveexec_b64 s[44:45], vcc
	s_cbranch_execz .LBB3_26
; %bb.36:                               ;   in Loop: Header=BB3_28 Depth=2
	s_bcnt1_i32_b64 s46, s[46:47]
	v_mov_b32_e32 v23, s46
	ds_add_rtn_u32 v23, v9, v23 offset:128
	s_branch .LBB3_26
.LBB3_37:                               ;   in Loop: Header=BB3_12 Depth=1
	s_mov_b64 s[34:35], 0
	s_branch .LBB3_63
.LBB3_38:                               ;   in Loop: Header=BB3_12 Depth=1
	s_or_b64 exec, exec, s[38:39]
	s_cbranch_execz .LBB3_41
	s_branch .LBB3_55
.LBB3_39:                               ;   in Loop: Header=BB3_12 Depth=1
	s_branch .LBB3_56
.LBB3_40:                               ;   in Loop: Header=BB3_12 Depth=1
.LBB3_41:                               ;   in Loop: Header=BB3_12 Depth=1
	s_and_saveexec_b64 s[36:37], s[6:7]
	s_cbranch_execz .LBB3_54
; %bb.42:                               ;   in Loop: Header=BB3_12 Depth=1
	s_lshl_b32 s46, -1, s20
	s_mov_b64 s[6:7], 0
	v_mov_b32_e32 v3, s31
	v_mov_b32_e32 v1, v0
	s_branch .LBB3_45
.LBB3_43:                               ;   in Loop: Header=BB3_45 Depth=2
	s_or_b64 exec, exec, s[40:41]
	s_waitcnt lgkmcnt(0)
	v_readfirstlane_b32 s40, v21
	v_add_u32_e32 v21, s40, v6
	v_ashrrev_i32_e32 v22, 31, v21
	v_lshlrev_b64 v[21:22], 2, v[21:22]
	v_mov_b32_e32 v6, s35
	v_add_co_u32_e32 v23, vcc, s34, v21
	v_addc_co_u32_e32 v24, vcc, v6, v22, vcc
	global_store_dword v[23:24], v5, off
	v_mov_b32_e32 v6, s13
	v_add_co_u32_e32 v5, vcc, s12, v21
	v_lshrrev_b32_e32 v2, s54, v2
	v_addc_co_u32_e32 v6, vcc, v6, v22, vcc
	v_and_b32_e32 v2, s62, v2
	global_store_dword v[5:6], v1, off
	v_lshlrev_b32_e32 v2, 2, v2
	ds_add_u32 v2, v15 offset:640
.LBB3_44:                               ;   in Loop: Header=BB3_45 Depth=2
	s_or_b64 exec, exec, s[38:39]
	v_add_u32_e32 v1, s52, v1
	v_cmp_le_i32_e32 vcc, s63, v1
	s_or_b64 s[6:7], vcc, s[6:7]
	s_andn2_b64 exec, exec, s[6:7]
	s_cbranch_execz .LBB3_54
.LBB3_45:                               ;   Parent Loop BB3_12 Depth=1
                                        ; =>  This Inner Loop Header: Depth=2
	v_ashrrev_i32_e32 v2, 31, v1
	v_lshlrev_b64 v[5:6], 2, v[1:2]
	v_add_co_u32_e32 v5, vcc, s30, v5
	v_addc_co_u32_e32 v6, vcc, v3, v6, vcc
	global_load_dword v5, v[5:6], off
	s_waitcnt vmcnt(0)
	v_cmp_gt_f32_e32 vcc, 0, v5
	v_cndmask_b32_e64 v2, v14, 0, vcc
	v_xor_b32_e32 v2, v2, v5
	v_and_b32_e32 v6, s46, v2
	s_waitcnt lgkmcnt(0)
	v_cmp_ne_u32_e32 vcc, v6, v4
	s_and_saveexec_b64 s[38:39], vcc
	s_xor_b64 s[38:39], exec, s[38:39]
	s_cbranch_execz .LBB3_51
; %bb.46:                               ;   in Loop: Header=BB3_45 Depth=2
	v_cmp_lt_u32_e32 vcc, v6, v4
	s_and_saveexec_b64 s[40:41], vcc
	s_cbranch_execz .LBB3_50
; %bb.47:                               ;   in Loop: Header=BB3_45 Depth=2
	s_mov_b64 s[44:45], exec
	v_mbcnt_lo_u32_b32 v2, s44, 0
	v_mbcnt_hi_u32_b32 v2, s45, v2
	v_cmp_eq_u32_e32 vcc, 0, v2
                                        ; implicit-def: $vgpr5
	s_and_saveexec_b64 s[42:43], vcc
; %bb.48:                               ;   in Loop: Header=BB3_45 Depth=2
	s_bcnt1_i32_b64 s44, s[44:45]
	v_mov_b32_e32 v5, s44
	ds_add_rtn_u32 v5, v9, v5 offset:384
; %bb.49:                               ;   in Loop: Header=BB3_45 Depth=2
	s_or_b64 exec, exec, s[42:43]
	s_waitcnt lgkmcnt(0)
	v_readfirstlane_b32 s42, v5
	v_add_u32_e32 v5, s42, v2
	v_ashrrev_i32_e32 v6, 31, v5
	v_lshlrev_b64 v[5:6], 2, v[5:6]
	v_mov_b32_e32 v2, s51
	v_add_co_u32_e32 v5, vcc, s50, v5
	v_addc_co_u32_e32 v6, vcc, v2, v6, vcc
	global_store_dword v[5:6], v1, off
.LBB3_50:                               ;   in Loop: Header=BB3_45 Depth=2
	s_or_b64 exec, exec, s[40:41]
                                        ; implicit-def: $vgpr5
                                        ; implicit-def: $vgpr2
.LBB3_51:                               ;   in Loop: Header=BB3_45 Depth=2
	s_andn2_saveexec_b64 s[38:39], s[38:39]
	s_cbranch_execz .LBB3_44
; %bb.52:                               ;   in Loop: Header=BB3_45 Depth=2
	s_mov_b64 s[42:43], exec
	v_mbcnt_lo_u32_b32 v6, s42, 0
	v_mbcnt_hi_u32_b32 v6, s43, v6
	v_cmp_eq_u32_e32 vcc, 0, v6
                                        ; implicit-def: $vgpr21
	s_and_saveexec_b64 s[40:41], vcc
	s_cbranch_execz .LBB3_43
; %bb.53:                               ;   in Loop: Header=BB3_45 Depth=2
	s_bcnt1_i32_b64 s42, s[42:43]
	v_mov_b32_e32 v21, s42
	ds_add_rtn_u32 v21, v9, v21 offset:128
	s_branch .LBB3_43
.LBB3_54:                               ;   in Loop: Header=BB3_12 Depth=1
	s_or_b64 exec, exec, s[36:37]
.LBB3_55:                               ;   in Loop: Header=BB3_12 Depth=1
	s_cbranch_execnz .LBB3_62
.LBB3_56:                               ;   in Loop: Header=BB3_12 Depth=1
	v_cmp_gt_i32_e32 vcc, s63, v0
	s_and_saveexec_b64 s[6:7], vcc
	s_cbranch_execz .LBB3_61
; %bb.57:                               ;   in Loop: Header=BB3_12 Depth=1
	s_lshl_b32 s20, -1, s20
	s_mov_b64 s[34:35], 0
	v_mov_b32_e32 v1, v0
	s_branch .LBB3_59
.LBB3_58:                               ;   in Loop: Header=BB3_59 Depth=2
	s_or_b64 exec, exec, s[36:37]
	v_add_u32_e32 v1, s52, v1
	v_cmp_le_i32_e32 vcc, s63, v1
	s_or_b64 s[34:35], vcc, s[34:35]
	s_andn2_b64 exec, exec, s[34:35]
	s_cbranch_execz .LBB3_61
.LBB3_59:                               ;   Parent Loop BB3_12 Depth=1
                                        ; =>  This Inner Loop Header: Depth=2
	v_ashrrev_i32_e32 v2, 31, v1
	v_lshlrev_b64 v[2:3], 2, v[1:2]
	v_mov_b32_e32 v5, s31
	v_add_co_u32_e32 v2, vcc, s30, v2
	v_addc_co_u32_e32 v3, vcc, v5, v3, vcc
	global_load_dword v2, v[2:3], off
	s_waitcnt vmcnt(0)
	v_cmp_gt_f32_e32 vcc, 0, v2
	v_cndmask_b32_e64 v3, v14, 0, vcc
	v_xor_b32_e32 v2, v3, v2
	v_and_b32_e32 v3, s20, v2
	s_waitcnt lgkmcnt(0)
	v_cmp_eq_u32_e32 vcc, v3, v4
	s_and_saveexec_b64 s[36:37], vcc
	s_cbranch_execz .LBB3_58
; %bb.60:                               ;   in Loop: Header=BB3_59 Depth=2
	v_lshrrev_b32_e32 v2, s54, v2
	v_and_b32_e32 v2, s62, v2
	v_lshlrev_b32_e32 v2, 2, v2
	ds_add_u32 v2, v15 offset:640
	s_branch .LBB3_58
.LBB3_61:                               ;   in Loop: Header=BB3_12 Depth=1
	s_or_b64 exec, exec, s[6:7]
.LBB3_62:                               ;   in Loop: Header=BB3_12 Depth=1
	s_mov_b64 s[34:35], 0
	s_cbranch_execnz .LBB3_121
.LBB3_63:                               ;   in Loop: Header=BB3_12 Depth=1
	s_and_b32 s20, s30, 15
	s_sub_i32 s6, 16, s20
	s_lshr_b32 s6, s6, 2
	s_cmp_lg_u64 s[20:21], 0
	s_cselect_b32 s6, s6, 0
	s_min_i32 s6, s6, s63
	s_sub_i32 s7, s63, s6
	s_ashr_i32 s20, s7, 31
	s_lshr_b32 s20, s20, 30
	s_add_i32 s7, s7, s20
	s_ashr_i32 s20, s7, 2
	v_cmp_gt_i32_e32 vcc, s20, v0
	v_mov_b32_e32 v21, 0xff7fffff
	v_mov_b32_e32 v22, 0x7f7fffff
	;; [unrolled: 1-line block ×3, first 2 shown]
	v_mov_b32_e32 v23, -1
                                        ; implicit-def: $vgpr4
	s_and_saveexec_b64 s[34:35], vcc
	s_cbranch_execz .LBB3_91
; %bb.64:                               ;   in Loop: Header=BB3_12 Depth=1
	s_ashr_i32 s7, s6, 31
	s_lshl_b64 s[36:37], s[6:7], 2
	s_add_u32 s7, s30, s36
	s_addc_u32 s42, s31, s37
	v_mov_b32_e32 v24, 0
	v_mov_b32_e32 v23, -1
	v_mov_b32_e32 v22, 0x7f7fffff
	v_mov_b32_e32 v21, 0xff7fffff
	s_mov_b64 s[36:37], 0
	v_mov_b32_e32 v5, v0
	s_branch .LBB3_66
.LBB3_65:                               ;   in Loop: Header=BB3_66 Depth=2
	s_or_b64 exec, exec, s[38:39]
	v_min3_f32 v6, v22, v1, v2
	v_max3_f32 v1, v21, v1, v2
	v_and_b32_e32 v2, 0x7ff, v26
	v_lshlrev_b32_e32 v2, 2, v2
	ds_add_u32 v2, v15 offset:8832
	v_add_u32_e32 v5, s52, v5
	v_cmp_le_i32_e32 vcc, s20, v5
	v_min3_f32 v22, v6, v3, v4
	s_or_b64 s[36:37], vcc, s[36:37]
	v_max3_f32 v21, v1, v3, v4
	s_andn2_b64 exec, exec, s[36:37]
	s_cbranch_execz .LBB3_90
.LBB3_66:                               ;   Parent Loop BB3_12 Depth=1
                                        ; =>  This Inner Loop Header: Depth=2
	v_ashrrev_i32_e32 v6, 31, v5
	v_lshlrev_b64 v[1:2], 4, v[5:6]
	v_mov_b32_e32 v3, s42
	v_add_co_u32_e32 v1, vcc, s7, v1
	v_addc_co_u32_e32 v2, vcc, v3, v2, vcc
	s_waitcnt lgkmcnt(0)
	global_load_dwordx4 v[1:4], v[1:2], off
	s_waitcnt vmcnt(0)
	v_cmp_gt_f32_e32 vcc, 0, v1
	v_cndmask_b32_e64 v6, v14, 0, vcc
	v_xor_b32_e32 v26, v6, v1
	v_lshrrev_b32_e32 v6, s54, v26
	v_and_b32_e32 v6, s62, v6
	v_cmp_ne_u32_e32 vcc, v6, v23
	s_and_saveexec_b64 s[38:39], vcc
	s_xor_b64 s[38:39], exec, s[38:39]
	s_cbranch_execz .LBB3_70
; %bb.67:                               ;   in Loop: Header=BB3_66 Depth=2
	v_cmp_lt_i32_e32 vcc, 0, v24
	s_and_saveexec_b64 s[40:41], vcc
; %bb.68:                               ;   in Loop: Header=BB3_66 Depth=2
	v_lshlrev_b32_e32 v23, 2, v23
	ds_add_u32 v23, v24 offset:640
; %bb.69:                               ;   in Loop: Header=BB3_66 Depth=2
	s_or_b64 exec, exec, s[40:41]
                                        ; implicit-def: $vgpr24
                                        ; implicit-def: $vgpr23
.LBB3_70:                               ;   in Loop: Header=BB3_66 Depth=2
	s_or_saveexec_b64 s[38:39], s[38:39]
	v_mov_b32_e32 v25, 1
	s_xor_b64 exec, exec, s[38:39]
; %bb.71:                               ;   in Loop: Header=BB3_66 Depth=2
	v_add_u32_e32 v25, 1, v24
	v_mov_b32_e32 v6, v23
; %bb.72:                               ;   in Loop: Header=BB3_66 Depth=2
	s_or_b64 exec, exec, s[38:39]
	v_and_b32_e32 v23, 0x7ff, v26
	v_lshlrev_b32_e32 v23, 2, v23
	v_cmp_gt_f32_e32 vcc, 0, v2
	ds_add_u32 v23, v15 offset:8832
	v_cndmask_b32_e64 v23, v14, 0, vcc
	v_xor_b32_e32 v26, v23, v2
	v_lshrrev_b32_e32 v23, s54, v26
	v_and_b32_e32 v23, s62, v23
	v_cmp_ne_u32_e32 vcc, v23, v6
	s_and_saveexec_b64 s[38:39], vcc
	s_xor_b64 s[38:39], exec, s[38:39]
	s_cbranch_execz .LBB3_76
; %bb.73:                               ;   in Loop: Header=BB3_66 Depth=2
	v_cmp_lt_i32_e32 vcc, 0, v25
	s_and_saveexec_b64 s[40:41], vcc
; %bb.74:                               ;   in Loop: Header=BB3_66 Depth=2
	v_lshlrev_b32_e32 v6, 2, v6
	ds_add_u32 v6, v25 offset:640
; %bb.75:                               ;   in Loop: Header=BB3_66 Depth=2
	s_or_b64 exec, exec, s[40:41]
                                        ; implicit-def: $vgpr25
                                        ; implicit-def: $vgpr6
.LBB3_76:                               ;   in Loop: Header=BB3_66 Depth=2
	s_or_saveexec_b64 s[38:39], s[38:39]
	v_mov_b32_e32 v24, 1
	s_xor_b64 exec, exec, s[38:39]
; %bb.77:                               ;   in Loop: Header=BB3_66 Depth=2
	v_add_u32_e32 v24, 1, v25
	v_mov_b32_e32 v23, v6
; %bb.78:                               ;   in Loop: Header=BB3_66 Depth=2
	s_or_b64 exec, exec, s[38:39]
	v_and_b32_e32 v6, 0x7ff, v26
	v_lshlrev_b32_e32 v6, 2, v6
	v_cmp_gt_f32_e32 vcc, 0, v3
	ds_add_u32 v6, v15 offset:8832
	v_cndmask_b32_e64 v6, v14, 0, vcc
	v_xor_b32_e32 v26, v6, v3
	v_lshrrev_b32_e32 v6, s54, v26
	v_and_b32_e32 v6, s62, v6
	v_cmp_ne_u32_e32 vcc, v6, v23
	s_and_saveexec_b64 s[38:39], vcc
	s_xor_b64 s[38:39], exec, s[38:39]
	s_cbranch_execz .LBB3_82
; %bb.79:                               ;   in Loop: Header=BB3_66 Depth=2
	v_cmp_lt_i32_e32 vcc, 0, v24
	s_and_saveexec_b64 s[40:41], vcc
; %bb.80:                               ;   in Loop: Header=BB3_66 Depth=2
	v_lshlrev_b32_e32 v23, 2, v23
	ds_add_u32 v23, v24 offset:640
; %bb.81:                               ;   in Loop: Header=BB3_66 Depth=2
	s_or_b64 exec, exec, s[40:41]
                                        ; implicit-def: $vgpr24
                                        ; implicit-def: $vgpr23
.LBB3_82:                               ;   in Loop: Header=BB3_66 Depth=2
	s_or_saveexec_b64 s[38:39], s[38:39]
	v_mov_b32_e32 v25, 1
	s_xor_b64 exec, exec, s[38:39]
; %bb.83:                               ;   in Loop: Header=BB3_66 Depth=2
	v_add_u32_e32 v25, 1, v24
	v_mov_b32_e32 v6, v23
; %bb.84:                               ;   in Loop: Header=BB3_66 Depth=2
	s_or_b64 exec, exec, s[38:39]
	v_and_b32_e32 v23, 0x7ff, v26
	v_lshlrev_b32_e32 v23, 2, v23
	v_cmp_gt_f32_e32 vcc, 0, v4
	ds_add_u32 v23, v15 offset:8832
	v_cndmask_b32_e64 v23, v14, 0, vcc
	v_xor_b32_e32 v26, v23, v4
	v_lshrrev_b32_e32 v23, s54, v26
	v_and_b32_e32 v23, s62, v23
	v_cmp_ne_u32_e32 vcc, v23, v6
	s_and_saveexec_b64 s[38:39], vcc
	s_xor_b64 s[38:39], exec, s[38:39]
	s_cbranch_execz .LBB3_88
; %bb.85:                               ;   in Loop: Header=BB3_66 Depth=2
	v_cmp_lt_i32_e32 vcc, 0, v25
	s_and_saveexec_b64 s[40:41], vcc
; %bb.86:                               ;   in Loop: Header=BB3_66 Depth=2
	v_lshlrev_b32_e32 v6, 2, v6
	ds_add_u32 v6, v25 offset:640
; %bb.87:                               ;   in Loop: Header=BB3_66 Depth=2
	s_or_b64 exec, exec, s[40:41]
                                        ; implicit-def: $vgpr25
                                        ; implicit-def: $vgpr6
.LBB3_88:                               ;   in Loop: Header=BB3_66 Depth=2
	s_or_saveexec_b64 s[38:39], s[38:39]
	v_mov_b32_e32 v24, 1
	s_xor_b64 exec, exec, s[38:39]
	s_cbranch_execz .LBB3_65
; %bb.89:                               ;   in Loop: Header=BB3_66 Depth=2
	v_add_u32_e32 v24, 1, v25
	v_mov_b32_e32 v23, v6
	s_branch .LBB3_65
.LBB3_90:                               ;   in Loop: Header=BB3_12 Depth=1
	s_or_b64 exec, exec, s[36:37]
.LBB3_91:                               ;   in Loop: Header=BB3_12 Depth=1
	s_or_b64 exec, exec, s[34:35]
	v_cmp_gt_u32_e32 vcc, s6, v0
	s_and_saveexec_b64 s[34:35], vcc
	s_cbranch_execz .LBB3_99
; %bb.92:                               ;   in Loop: Header=BB3_12 Depth=1
	s_waitcnt lgkmcnt(0)
	global_load_dword v4, v16, s[30:31]
	s_waitcnt vmcnt(0)
	v_cmp_gt_f32_e32 vcc, 0, v4
	v_cndmask_b32_e64 v1, v14, 0, vcc
	v_xor_b32_e32 v2, v1, v4
	v_lshrrev_b32_e32 v1, s54, v2
	v_and_b32_e32 v1, s62, v1
	v_cmp_ne_u32_e32 vcc, v1, v23
	s_and_saveexec_b64 s[36:37], vcc
	s_xor_b64 s[36:37], exec, s[36:37]
	s_cbranch_execz .LBB3_96
; %bb.93:                               ;   in Loop: Header=BB3_12 Depth=1
	v_cmp_lt_i32_e32 vcc, 0, v24
	s_and_saveexec_b64 s[38:39], vcc
; %bb.94:                               ;   in Loop: Header=BB3_12 Depth=1
	v_lshlrev_b32_e32 v3, 2, v23
	ds_add_u32 v3, v24 offset:640
; %bb.95:                               ;   in Loop: Header=BB3_12 Depth=1
	s_or_b64 exec, exec, s[38:39]
                                        ; implicit-def: $vgpr24
                                        ; implicit-def: $vgpr23
.LBB3_96:                               ;   in Loop: Header=BB3_12 Depth=1
	s_or_saveexec_b64 s[36:37], s[36:37]
	v_mov_b32_e32 v3, 1
	s_xor_b64 exec, exec, s[36:37]
; %bb.97:                               ;   in Loop: Header=BB3_12 Depth=1
	v_add_u32_e32 v3, 1, v24
	v_mov_b32_e32 v1, v23
; %bb.98:                               ;   in Loop: Header=BB3_12 Depth=1
	s_or_b64 exec, exec, s[36:37]
	v_and_b32_e32 v2, 0x7ff, v2
	v_lshlrev_b32_e32 v2, 2, v2
	ds_add_u32 v2, v15 offset:8832
	v_max_f32_e32 v2, v22, v22
	v_max_f32_e32 v5, v4, v4
	v_min_f32_e32 v22, v2, v5
	v_max_f32_e32 v2, v21, v21
	v_max_f32_e32 v21, v2, v5
	v_mov_b32_e32 v23, v1
	v_mov_b32_e32 v24, v3
.LBB3_99:                               ;   in Loop: Header=BB3_12 Depth=1
	s_or_b64 exec, exec, s[34:35]
	s_lshl_b32 s7, s20, 2
	s_add_i32 s7, s7, s6
	v_add_u32_e32 v1, s7, v0
	v_cmp_gt_i32_e32 vcc, s63, v1
	s_and_saveexec_b64 s[6:7], vcc
	s_cbranch_execz .LBB3_107
; %bb.100:                              ;   in Loop: Header=BB3_12 Depth=1
	v_ashrrev_i32_e32 v2, 31, v1
	v_lshlrev_b64 v[1:2], 2, v[1:2]
	v_mov_b32_e32 v3, s31
	v_add_co_u32_e32 v1, vcc, s30, v1
	v_addc_co_u32_e32 v2, vcc, v3, v2, vcc
	s_waitcnt lgkmcnt(0)
	global_load_dword v4, v[1:2], off
	s_waitcnt vmcnt(0)
	v_cmp_gt_f32_e32 vcc, 0, v4
	v_cndmask_b32_e64 v1, v14, 0, vcc
	v_xor_b32_e32 v2, v1, v4
	v_lshrrev_b32_e32 v1, s54, v2
	v_and_b32_e32 v1, s62, v1
	v_cmp_ne_u32_e32 vcc, v1, v23
	s_and_saveexec_b64 s[30:31], vcc
	s_xor_b64 s[30:31], exec, s[30:31]
	s_cbranch_execz .LBB3_104
; %bb.101:                              ;   in Loop: Header=BB3_12 Depth=1
	v_cmp_lt_i32_e32 vcc, 0, v24
	s_and_saveexec_b64 s[34:35], vcc
; %bb.102:                              ;   in Loop: Header=BB3_12 Depth=1
	v_lshlrev_b32_e32 v3, 2, v23
	ds_add_u32 v3, v24 offset:640
; %bb.103:                              ;   in Loop: Header=BB3_12 Depth=1
	s_or_b64 exec, exec, s[34:35]
                                        ; implicit-def: $vgpr24
                                        ; implicit-def: $vgpr23
.LBB3_104:                              ;   in Loop: Header=BB3_12 Depth=1
	s_or_saveexec_b64 s[30:31], s[30:31]
	v_mov_b32_e32 v3, 1
	s_xor_b64 exec, exec, s[30:31]
; %bb.105:                              ;   in Loop: Header=BB3_12 Depth=1
	v_add_u32_e32 v3, 1, v24
	v_mov_b32_e32 v1, v23
; %bb.106:                              ;   in Loop: Header=BB3_12 Depth=1
	s_or_b64 exec, exec, s[30:31]
	v_and_b32_e32 v2, 0x7ff, v2
	v_lshlrev_b32_e32 v2, 2, v2
	ds_add_u32 v2, v15 offset:8832
	v_max_f32_e32 v2, v22, v22
	v_max_f32_e32 v5, v4, v4
	v_min_f32_e32 v22, v2, v5
	v_max_f32_e32 v2, v21, v21
	v_max_f32_e32 v21, v2, v5
	v_mov_b32_e32 v23, v1
	v_mov_b32_e32 v24, v3
.LBB3_107:                              ;   in Loop: Header=BB3_12 Depth=1
	s_or_b64 exec, exec, s[6:7]
	v_cmp_lt_i32_e32 vcc, 0, v24
	s_and_saveexec_b64 s[6:7], vcc
	s_cbranch_execz .LBB3_110
; %bb.108:                              ;   in Loop: Header=BB3_12 Depth=1
	s_waitcnt lgkmcnt(0)
	v_cmp_lt_f32_e32 vcc, 0, v4
	v_xor_b32_e32 v1, 0x80000000, v4
	v_cndmask_b32_e64 v2, v14, 0, vcc
	v_xor_b32_e32 v1, v2, v1
	v_lshrrev_b32_e32 v1, s54, v1
	v_and_b32_e32 v1, s62, v1
	v_cmp_ne_u32_e32 vcc, v1, v23
	s_and_b64 exec, exec, vcc
; %bb.109:                              ;   in Loop: Header=BB3_12 Depth=1
	v_lshlrev_b32_e32 v1, 2, v23
	ds_add_u32 v1, v24 offset:640
.LBB3_110:                              ;   in Loop: Header=BB3_12 Depth=1
	s_or_b64 exec, exec, s[6:7]
	v_mov_b32_dpp v1, v22 quad_perm:[1,0,3,2] row_mask:0xf bank_mask:0xf bound_ctrl:1
	v_cmp_lt_f32_e32 vcc, v22, v1
	v_cndmask_b32_e32 v1, v1, v22, vcc
	s_nop 1
	v_mov_b32_dpp v2, v1 quad_perm:[2,3,0,1] row_mask:0xf bank_mask:0xf bound_ctrl:1
	v_cmp_lt_f32_e32 vcc, v1, v2
	v_cndmask_b32_e32 v1, v2, v1, vcc
	s_nop 1
	v_mov_b32_dpp v2, v1 row_ror:4 row_mask:0xf bank_mask:0xf bound_ctrl:1
	v_cmp_lt_f32_e32 vcc, v1, v2
	v_cndmask_b32_e32 v1, v2, v1, vcc
	s_nop 1
	v_mov_b32_dpp v2, v1 row_ror:8 row_mask:0xf bank_mask:0xf bound_ctrl:1
	v_cmp_lt_f32_e32 vcc, v1, v2
	v_cndmask_b32_e32 v1, v2, v1, vcc
	s_nop 1
	v_mov_b32_dpp v2, v1 row_bcast:15 row_mask:0xf bank_mask:0xf bound_ctrl:1
	v_cmp_lt_f32_e32 vcc, v1, v2
	v_cndmask_b32_e32 v1, v2, v1, vcc
	s_nop 1
	v_mov_b32_dpp v2, v1 row_bcast:31 row_mask:0xf bank_mask:0xf bound_ctrl:1
	v_cmp_lt_f32_e32 vcc, v1, v2
	v_cndmask_b32_e32 v1, v2, v1, vcc
	v_lshlrev_b32_e32 v2, 2, v18
	v_or_b32_e32 v5, 0xfc, v2
	ds_bpermute_b32 v1, v5, v1
	v_cmp_eq_u32_e32 vcc, 0, v18
	s_and_saveexec_b64 s[6:7], vcc
	s_cbranch_execz .LBB3_112
; %bb.111:                              ;   in Loop: Header=BB3_12 Depth=1
	s_waitcnt lgkmcnt(0)
	ds_write_b32 v10, v1
.LBB3_112:                              ;   in Loop: Header=BB3_12 Depth=1
	s_or_b64 exec, exec, s[6:7]
	v_and_b32_e32 v3, 15, v18
	v_or_b32_e32 v2, 32, v2
	s_waitcnt lgkmcnt(1)
	v_lshlrev_b32_e32 v4, 2, v3
	s_waitcnt vmcnt(0) lgkmcnt(0)
	s_barrier
	s_and_saveexec_b64 s[30:31], s[4:5]
	s_cbranch_execz .LBB3_114
; %bb.113:                              ;   in Loop: Header=BB3_12 Depth=1
	ds_read_b32 v1, v4 offset:25472
	v_cmp_ne_u32_e64 s[6:7], 15, v3
	v_addc_co_u32_e64 v6, s[6:7], 0, v18, s[6:7]
	v_lshlrev_b32_e32 v6, 2, v6
	s_waitcnt lgkmcnt(0)
	ds_bpermute_b32 v6, v6, v1
	v_cmp_gt_u32_e64 s[6:7], 14, v3
	v_cndmask_b32_e64 v22, 0, 2, s[6:7]
	v_add_lshl_u32 v22, v22, v18, 2
	s_waitcnt lgkmcnt(0)
	v_cmp_gt_f32_e64 s[6:7], v1, v6
	v_cndmask_b32_e64 v1, v1, v6, s[6:7]
	ds_bpermute_b32 v6, v22, v1
	v_cmp_gt_u32_e64 s[6:7], 12, v3
	v_cndmask_b32_e64 v22, 0, 4, s[6:7]
	v_add_lshl_u32 v22, v22, v18, 2
	s_waitcnt lgkmcnt(0)
	v_cmp_gt_f32_e64 s[6:7], v1, v6
	v_cndmask_b32_e64 v1, v1, v6, s[6:7]
	ds_bpermute_b32 v6, v22, v1
	s_waitcnt lgkmcnt(0)
	v_cmp_gt_f32_e64 s[6:7], v1, v6
	v_cndmask_b32_e64 v1, v1, v6, s[6:7]
	ds_bpermute_b32 v6, v2, v1
	s_waitcnt lgkmcnt(0)
	v_cmp_gt_f32_e64 s[6:7], v1, v6
	v_cndmask_b32_e64 v1, v1, v6, s[6:7]
.LBB3_114:                              ;   in Loop: Header=BB3_12 Depth=1
	s_or_b64 exec, exec, s[30:31]
	v_mov_b32_dpp v6, v21 quad_perm:[1,0,3,2] row_mask:0xf bank_mask:0xf bound_ctrl:1
	v_cmp_gt_f32_e64 s[6:7], v21, v6
	v_cndmask_b32_e64 v6, v6, v21, s[6:7]
	s_nop 1
	v_mov_b32_dpp v21, v6 quad_perm:[2,3,0,1] row_mask:0xf bank_mask:0xf bound_ctrl:1
	v_cmp_gt_f32_e64 s[6:7], v6, v21
	v_cndmask_b32_e64 v6, v21, v6, s[6:7]
	s_nop 1
	v_mov_b32_dpp v21, v6 row_ror:4 row_mask:0xf bank_mask:0xf bound_ctrl:1
	v_cmp_gt_f32_e64 s[6:7], v6, v21
	v_cndmask_b32_e64 v6, v21, v6, s[6:7]
	s_nop 1
	v_mov_b32_dpp v21, v6 row_ror:8 row_mask:0xf bank_mask:0xf bound_ctrl:1
	v_cmp_gt_f32_e64 s[6:7], v6, v21
	v_cndmask_b32_e64 v6, v21, v6, s[6:7]
	s_nop 1
	v_mov_b32_dpp v21, v6 row_bcast:15 row_mask:0xf bank_mask:0xf bound_ctrl:1
	v_cmp_gt_f32_e64 s[6:7], v6, v21
	v_cndmask_b32_e64 v6, v21, v6, s[6:7]
	s_nop 1
	v_mov_b32_dpp v21, v6 row_bcast:31 row_mask:0xf bank_mask:0xf bound_ctrl:1
	v_cmp_gt_f32_e64 s[6:7], v6, v21
	v_cndmask_b32_e64 v6, v21, v6, s[6:7]
	ds_bpermute_b32 v5, v5, v6
	s_and_saveexec_b64 s[6:7], vcc
	s_cbranch_execz .LBB3_116
; %bb.115:                              ;   in Loop: Header=BB3_12 Depth=1
	s_waitcnt lgkmcnt(0)
	ds_write_b32 v10, v5
.LBB3_116:                              ;   in Loop: Header=BB3_12 Depth=1
	s_or_b64 exec, exec, s[6:7]
	s_waitcnt lgkmcnt(0)
	s_barrier
	s_and_saveexec_b64 s[6:7], s[4:5]
	s_cbranch_execz .LBB3_118
; %bb.117:                              ;   in Loop: Header=BB3_12 Depth=1
	ds_read_b32 v4, v4 offset:25472
	v_cmp_ne_u32_e32 vcc, 15, v3
	v_addc_co_u32_e32 v5, vcc, 0, v18, vcc
	v_lshlrev_b32_e32 v5, 2, v5
	s_waitcnt lgkmcnt(0)
	ds_bpermute_b32 v5, v5, v4
	v_cmp_gt_u32_e32 vcc, 14, v3
	v_cndmask_b32_e64 v6, 0, 2, vcc
	v_add_lshl_u32 v6, v6, v18, 2
	s_waitcnt lgkmcnt(0)
	v_cmp_lt_f32_e32 vcc, v4, v5
	v_cndmask_b32_e32 v4, v4, v5, vcc
	ds_bpermute_b32 v5, v6, v4
	v_cmp_gt_u32_e32 vcc, 12, v3
	v_cndmask_b32_e64 v3, 0, 4, vcc
	v_add_lshl_u32 v3, v3, v18, 2
	s_waitcnt lgkmcnt(0)
	v_cmp_lt_f32_e32 vcc, v4, v5
	v_cndmask_b32_e32 v4, v4, v5, vcc
	ds_bpermute_b32 v3, v3, v4
	s_waitcnt lgkmcnt(0)
	v_cmp_lt_f32_e32 vcc, v4, v3
	v_cndmask_b32_e32 v3, v4, v3, vcc
	ds_bpermute_b32 v2, v2, v3
	s_waitcnt lgkmcnt(0)
	v_cmp_lt_f32_e32 vcc, v3, v2
	v_cndmask_b32_e32 v5, v3, v2, vcc
.LBB3_118:                              ;   in Loop: Header=BB3_12 Depth=1
	s_or_b64 exec, exec, s[6:7]
	s_and_saveexec_b64 s[6:7], s[2:3]
	s_cbranch_execz .LBB3_120
; %bb.119:                              ;   in Loop: Header=BB3_12 Depth=1
	v_cmp_gt_f32_e32 vcc, 0, v1
	v_cndmask_b32_e64 v2, v19, 0, vcc
	v_cmp_gt_f32_e32 vcc, 0, v5
	v_xor_b32_e32 v1, v2, v1
	v_cndmask_b32_e64 v3, v19, 0, vcc
	v_xor_b32_e32 v1, v1, v5
	v_xor_b32_e32 v1, v1, v3
	v_cmp_gt_u32_e32 vcc, s59, v1
	v_cndmask_b32_e64 v1, 0, 1, vcc
	ds_write_b8 v9, v1 offset:25536
.LBB3_120:                              ;   in Loop: Header=BB3_12 Depth=1
	s_or_b64 exec, exec, s[6:7]
	s_waitcnt lgkmcnt(0)
	s_barrier
	ds_read_u8 v1, v9 offset:25536
	s_waitcnt lgkmcnt(0)
	v_readfirstlane_b32 s6, v1
	s_bitcmp1_b32 s6, 0
	s_cselect_b64 s[34:35], -1, 0
.LBB3_121:                              ;   in Loop: Header=BB3_12 Depth=1
	s_and_b64 s[6:7], s[34:35], exec
	s_cselect_b32 s20, 0x800, 0
	v_or_b32_e32 v1, s20, v0
	v_lshlrev_b32_e32 v3, 2, v1
	v_add_u32_e32 v1, 0x280, v3
	v_mov_b32_e32 v2, s19
	s_waitcnt vmcnt(0) lgkmcnt(0)
	s_barrier
	flat_load_dword v5, v[1:2] glc
	s_waitcnt vmcnt(0)
	v_add_u32_e32 v3, 0x1280, v3
	v_mov_b32_e32 v4, s19
	flat_load_dword v6, v[3:4] glc
	s_waitcnt vmcnt(0) lgkmcnt(0)
	ds_write_b32 v7, v5
	ds_write_b32 v8, v6 offset:4096
	s_waitcnt lgkmcnt(0)
	s_barrier
	ds_read2_b32 v[5:6], v20 offset1:1
	s_waitcnt lgkmcnt(0)
	s_barrier
	v_add_u32_e32 v21, v6, v5
	ds_write_b32 v7, v21
	s_waitcnt lgkmcnt(0)
	s_barrier
	s_and_saveexec_b64 s[6:7], s[4:5]
	s_cbranch_execz .LBB3_123
; %bb.122:                              ;   in Loop: Header=BB3_12 Depth=1
	ds_read2_b32 v[22:23], v17 offset1:1
	s_waitcnt lgkmcnt(0)
	v_add_u32_e32 v25, v23, v22
	ds_read2_b32 v[23:24], v17 offset0:2 offset1:3
	s_waitcnt lgkmcnt(0)
	v_add3_u32 v25, v25, v23, v24
	ds_read2_b32 v[23:24], v17 offset0:4 offset1:5
	s_waitcnt lgkmcnt(0)
	v_add3_u32 v25, v25, v23, v24
	;; [unrolled: 3-line block ×6, first 2 shown]
	ds_read2_b32 v[23:24], v17 offset0:14 offset1:15
	; wave barrier
	s_waitcnt lgkmcnt(0)
	v_add3_u32 v23, v25, v23, v24
	v_and_b32_e32 v24, 15, v18
	s_nop 0
	v_mov_b32_dpp v25, v23 row_shr:1 row_mask:0xf bank_mask:0xf
	v_cmp_ne_u32_e32 vcc, 0, v24
	v_cndmask_b32_e32 v25, 0, v25, vcc
	v_add_u32_e32 v23, v25, v23
	v_cmp_lt_u32_e32 vcc, 1, v24
	s_nop 0
	v_mov_b32_dpp v25, v23 row_shr:2 row_mask:0xf bank_mask:0xf
	v_cndmask_b32_e32 v25, 0, v25, vcc
	v_add_u32_e32 v23, v23, v25
	v_cmp_lt_u32_e32 vcc, 3, v24
	s_nop 0
	v_mov_b32_dpp v25, v23 row_shr:4 row_mask:0xf bank_mask:0xf
	;; [unrolled: 5-line block ×3, first 2 shown]
	v_cndmask_b32_e32 v24, 0, v25, vcc
	v_add_u32_e32 v23, v23, v24
	v_bfe_i32 v25, v18, 4, 1
	v_cmp_lt_u32_e32 vcc, 31, v18
	v_mov_b32_dpp v24, v23 row_bcast:15 row_mask:0xf bank_mask:0xf
	v_and_b32_e32 v24, v25, v24
	v_add_u32_e32 v23, v23, v24
	v_and_b32_e32 v25, 64, v18
	s_nop 0
	v_mov_b32_dpp v24, v23 row_bcast:31 row_mask:0xf bank_mask:0xf
	v_cndmask_b32_e32 v24, 0, v24, vcc
	v_add_u32_e32 v23, v23, v24
	v_add_u32_e32 v24, -1, v18
	v_cmp_lt_i32_e32 vcc, v24, v25
	v_cndmask_b32_e32 v24, v24, v18, vcc
	v_lshlrev_b32_e32 v24, 2, v24
	ds_bpermute_b32 v23, v24, v23
	s_waitcnt lgkmcnt(0)
	v_add_u32_e32 v22, v23, v22
	v_cndmask_b32_e64 v24, v22, v21, s[2:3]
	ds_write_b32 v17, v24
	; wave barrier
	ds_read2_b32 v[22:23], v17 offset0:1 offset1:2
	s_waitcnt lgkmcnt(0)
	v_add_u32_e32 v22, v22, v24
	v_add_u32_e32 v24, v23, v22
	ds_write2_b32 v17, v22, v24 offset0:1 offset1:2
	ds_read2_b32 v[22:23], v17 offset0:3 offset1:4
	s_waitcnt lgkmcnt(0)
	v_add_u32_e32 v22, v22, v24
	v_add_u32_e32 v24, v23, v22
	ds_write2_b32 v17, v22, v24 offset0:3 offset1:4
	ds_read2_b32 v[22:23], v17 offset0:5 offset1:6
	s_waitcnt lgkmcnt(0)
	v_add_u32_e32 v22, v22, v24
	v_add_u32_e32 v24, v23, v22
	ds_write2_b32 v17, v22, v24 offset0:5 offset1:6
	ds_read2_b32 v[22:23], v17 offset0:7 offset1:8
	s_waitcnt lgkmcnt(0)
	v_add_u32_e32 v22, v22, v24
	v_add_u32_e32 v24, v23, v22
	ds_write2_b32 v17, v22, v24 offset0:7 offset1:8
	ds_read2_b32 v[22:23], v17 offset0:9 offset1:10
	s_waitcnt lgkmcnt(0)
	v_add_u32_e32 v22, v22, v24
	v_add_u32_e32 v24, v23, v22
	ds_write2_b32 v17, v22, v24 offset0:9 offset1:10
	ds_read2_b32 v[22:23], v17 offset0:11 offset1:12
	s_waitcnt lgkmcnt(0)
	v_add_u32_e32 v22, v22, v24
	v_add_u32_e32 v24, v23, v22
	ds_write2_b32 v17, v22, v24 offset0:11 offset1:12
	ds_read2_b32 v[22:23], v17 offset0:13 offset1:14
	s_waitcnt lgkmcnt(0)
	v_add_u32_e32 v22, v22, v24
	v_add_u32_e32 v23, v23, v22
	ds_write2_b32 v17, v22, v23 offset0:13 offset1:14
	ds_read_b32 v22, v17 offset:60
	s_waitcnt lgkmcnt(0)
	v_add_u32_e32 v22, v22, v23
	ds_write_b32 v17, v22 offset:60
.LBB3_123:                              ;   in Loop: Header=BB3_12 Depth=1
	s_or_b64 exec, exec, s[6:7]
	s_waitcnt lgkmcnt(0)
	s_barrier
	s_and_saveexec_b64 s[6:7], s[0:1]
	s_cbranch_execz .LBB3_125
; %bb.124:                              ;   in Loop: Header=BB3_12 Depth=1
	ds_read_b32 v21, v11
	;;#ASMSTART
	;;#ASMEND
	s_waitcnt lgkmcnt(0)
	v_add_u32_e32 v5, v21, v5
	v_add_u32_e32 v21, v5, v6
.LBB3_125:                              ;   in Loop: Header=BB3_12 Depth=1
	s_or_b64 exec, exec, s[6:7]
	s_barrier
	ds_write2_b32 v20, v5, v21 offset1:1
	s_waitcnt lgkmcnt(0)
	s_barrier
	ds_read_b32 v5, v7
	ds_read_b32 v6, v8 offset:4096
	s_and_b64 s[6:7], s[34:35], exec
	s_waitcnt lgkmcnt(1)
	flat_store_dword v[1:2], v5
	s_waitcnt vmcnt(0) lgkmcnt(0)
	flat_store_dword v[3:4], v6
	s_waitcnt vmcnt(0) lgkmcnt(0)
	s_barrier
	s_cselect_b32 s6, 3, 0
	ds_read_b32 v1, v9 offset:12
	s_add_i32 s6, s6, s60
	s_mul_i32 s6, s6, -11
	s_max_i32 s36, s6, 0xffffffeb
	s_add_i32 s36, s36, 21
	v_lshl_add_u32 v2, s20, 2, v13
	s_mov_b64 s[30:31], 0
	v_mov_b32_e32 v3, v0
	s_branch .LBB3_127
.LBB3_126:                              ;   in Loop: Header=BB3_127 Depth=2
	s_or_b64 exec, exec, s[6:7]
	v_add_u32_e32 v3, s52, v3
	v_cmp_lt_u32_e32 vcc, s58, v3
	s_or_b64 s[30:31], vcc, s[30:31]
	v_add_u32_e32 v2, s56, v2
	s_andn2_b64 exec, exec, s[30:31]
	s_cbranch_execz .LBB3_131
.LBB3_127:                              ;   Parent Loop BB3_12 Depth=1
                                        ; =>  This Inner Loop Header: Depth=2
	v_mov_b32_e32 v4, 0
	v_cmp_ne_u32_e32 vcc, 0, v3
	s_and_saveexec_b64 s[6:7], vcc
; %bb.128:                              ;   in Loop: Header=BB3_127 Depth=2
	ds_read_b32 v4, v2
; %bb.129:                              ;   in Loop: Header=BB3_127 Depth=2
	s_or_b64 exec, exec, s[6:7]
	ds_read_b32 v5, v2 offset:4
	s_waitcnt lgkmcnt(1)
	v_cmp_gt_i32_e32 vcc, s61, v4
	s_waitcnt lgkmcnt(0)
	v_cmp_le_i32_e64 s[6:7], s61, v5
	s_and_b64 s[38:39], vcc, s[6:7]
	s_and_saveexec_b64 s[6:7], s[38:39]
	s_cbranch_execz .LBB3_126
; %bb.130:                              ;   in Loop: Header=BB3_127 Depth=2
	v_sub_u32_e32 v21, s61, v4
	v_sub_u32_e32 v22, v5, v4
	v_lshl_or_b32 v1, v3, s36, v1
	ds_write_b64 v9, v[21:22]
	ds_write_b32 v9, v1 offset:12
	s_branch .LBB3_126
.LBB3_131:                              ;   in Loop: Header=BB3_12 Depth=1
	s_or_b64 exec, exec, s[30:31]
	s_and_saveexec_b64 s[6:7], s[2:3]
; %bb.132:                              ;   in Loop: Header=BB3_12 Depth=1
	v_mov_b32_e32 v1, s55
	ds_write_b32 v9, v1 offset:8
; %bb.133:                              ;   in Loop: Header=BB3_12 Depth=1
	s_or_b64 exec, exec, s[6:7]
	s_cmp_lg_u32 s60, 2
	s_cselect_b64 s[30:31], -1, 0
	s_xor_b64 s[36:37], s[34:35], -1
	s_and_b64 s[30:31], s[30:31], s[36:37]
	s_mov_b64 s[6:7], -1
	s_and_b64 vcc, exec, s[30:31]
	s_mov_b64 s[30:31], -1
	s_waitcnt lgkmcnt(0)
	s_barrier
                                        ; implicit-def: $vgpr2
	s_cbranch_vccz .LBB3_11
; %bb.134:                              ;   in Loop: Header=BB3_12 Depth=1
	ds_read_b64 v[1:2], v9
	s_add_i32 s60, s60, 1
	s_mov_b64 s[6:7], 0
	s_waitcnt lgkmcnt(0)
	v_cmp_eq_u32_e64 s[30:31], v2, v1
	s_branch .LBB3_11
.LBB3_135:
	s_andn2_b64 vcc, exec, s[6:7]
	s_mov_b64 s[0:1], -1
	s_cbranch_vccz .LBB3_175
; %bb.136:
	v_mov_b32_e32 v1, 0
	ds_read_b32 v1, v1 offset:12
	s_and_b64 s[0:1], s[14:15], exec
	s_cselect_b32 s0, 0, s12
	s_cselect_b32 s1, 0, s13
	s_cmp_eq_u64 s[16:17], 0
	s_cselect_b32 s3, s11, s1
	s_cselect_b32 s2, s10, s0
	;; [unrolled: 1-line block ×5, first 2 shown]
	s_cmp_eq_u64 s[2:3], 0
	v_cmp_gt_i32_e64 s[0:1], s27, v0
	s_cbranch_scc1 .LBB3_155
; %bb.137:
	s_and_saveexec_b64 s[4:5], s[0:1]
	s_cbranch_execz .LBB3_154
; %bb.138:
	s_lshl_b32 s29, -1, s54
	s_mov_b64 s[6:7], 0
	v_mov_b32_e32 v7, s28
	v_bfrev_b32_e32 v8, -2
	v_mov_b32_e32 v9, 0
	v_mov_b32_e32 v3, v0
	s_branch .LBB3_140
.LBB3_139:                              ;   in Loop: Header=BB3_140 Depth=1
	s_or_b64 exec, exec, s[18:19]
	v_add_u32_e32 v3, s52, v3
	v_cmp_le_i32_e32 vcc, s27, v3
	s_or_b64 s[6:7], vcc, s[6:7]
	s_andn2_b64 exec, exec, s[6:7]
	s_cbranch_execz .LBB3_154
.LBB3_140:                              ; =>This Inner Loop Header: Depth=1
	v_ashrrev_i32_e32 v4, 31, v3
	v_lshlrev_b64 v[5:6], 2, v[3:4]
	s_mov_b64 s[20:21], 0
	s_waitcnt vmcnt(0)
	v_add_co_u32_e32 v10, vcc, s26, v5
	v_addc_co_u32_e32 v11, vcc, v7, v6, vcc
	global_load_dword v4, v[10:11], off
	s_waitcnt vmcnt(0)
	v_cmp_gt_f32_e32 vcc, 0, v4
	v_cndmask_b32_e64 v10, v8, 0, vcc
	v_xor_b32_e32 v4, v10, v4
	v_and_b32_e32 v11, s29, v4
	s_waitcnt lgkmcnt(0)
	v_cmp_ge_u32_e32 vcc, v11, v1
                                        ; implicit-def: $vgpr10
                                        ; implicit-def: $vgpr4
	s_and_saveexec_b64 s[18:19], vcc
	s_xor_b64 s[18:19], exec, s[18:19]
	s_cbranch_execnz .LBB3_143
; %bb.141:                              ;   in Loop: Header=BB3_140 Depth=1
	s_andn2_saveexec_b64 s[18:19], s[18:19]
	s_cbranch_execnz .LBB3_150
.LBB3_142:                              ;   in Loop: Header=BB3_140 Depth=1
	s_or_b64 exec, exec, s[18:19]
	s_and_saveexec_b64 s[18:19], s[20:21]
	s_cbranch_execz .LBB3_139
	s_branch .LBB3_153
.LBB3_143:                              ;   in Loop: Header=BB3_140 Depth=1
	v_cmp_eq_u32_e32 vcc, v11, v1
	s_mov_b64 s[22:23], 0
                                        ; implicit-def: $vgpr10
                                        ; implicit-def: $vgpr4
	s_and_saveexec_b64 s[20:21], vcc
	s_cbranch_execz .LBB3_149
; %bb.144:                              ;   in Loop: Header=BB3_140 Depth=1
	v_mov_b32_e32 v10, s3
	v_add_co_u32_e32 v4, vcc, s2, v5
	v_addc_co_u32_e32 v5, vcc, v10, v6, vcc
	global_load_dword v10, v[4:5], off
	s_mov_b64 s[22:23], exec
	v_mbcnt_lo_u32_b32 v4, s22, 0
	v_mbcnt_hi_u32_b32 v4, s23, v4
	v_cmp_eq_u32_e32 vcc, 0, v4
                                        ; implicit-def: $vgpr5
	s_and_saveexec_b64 s[24:25], vcc
; %bb.145:                              ;   in Loop: Header=BB3_140 Depth=1
	s_bcnt1_i32_b64 s22, s[22:23]
	v_mov_b32_e32 v5, s22
	ds_add_rtn_u32 v5, v9, v5 offset:512
; %bb.146:                              ;   in Loop: Header=BB3_140 Depth=1
	s_or_b64 exec, exec, s[24:25]
	s_waitcnt lgkmcnt(0)
	v_readfirstlane_b32 s22, v5
	v_add_u32_e32 v5, s22, v4
	v_cmp_lt_i32_e32 vcc, v5, v2
	s_mov_b64 s[22:23], 0
                                        ; implicit-def: $vgpr4
	s_and_saveexec_b64 s[24:25], vcc
	s_xor_b64 s[24:25], exec, s[24:25]
; %bb.147:                              ;   in Loop: Header=BB3_140 Depth=1
	s_mov_b64 s[22:23], exec
	v_xad_u32 v4, v5, -1, s33
; %bb.148:                              ;   in Loop: Header=BB3_140 Depth=1
	s_or_b64 exec, exec, s[24:25]
	s_and_b64 s[22:23], s[22:23], exec
.LBB3_149:                              ;   in Loop: Header=BB3_140 Depth=1
	s_or_b64 exec, exec, s[20:21]
	s_and_b64 s[20:21], s[22:23], exec
                                        ; implicit-def: $vgpr5_vgpr6
	s_andn2_saveexec_b64 s[18:19], s[18:19]
	s_cbranch_execz .LBB3_142
.LBB3_150:                              ;   in Loop: Header=BB3_140 Depth=1
	s_mov_b64 s[24:25], exec
	v_mbcnt_lo_u32_b32 v4, s24, 0
	v_mbcnt_hi_u32_b32 v4, s25, v4
	v_cmp_eq_u32_e32 vcc, 0, v4
                                        ; implicit-def: $vgpr11
	s_and_saveexec_b64 s[22:23], vcc
	s_cbranch_execz .LBB3_152
; %bb.151:                              ;   in Loop: Header=BB3_140 Depth=1
	s_bcnt1_i32_b64 s24, s[24:25]
	s_waitcnt vmcnt(0)
	v_mov_b32_e32 v10, s24
	ds_add_rtn_u32 v11, v9, v10 offset:384
.LBB3_152:                              ;   in Loop: Header=BB3_140 Depth=1
	s_or_b64 exec, exec, s[22:23]
	s_waitcnt vmcnt(0)
	v_mov_b32_e32 v10, s3
	v_add_co_u32_e32 v5, vcc, s2, v5
	v_addc_co_u32_e32 v6, vcc, v10, v6, vcc
	global_load_dword v10, v[5:6], off
	s_waitcnt lgkmcnt(0)
	v_readfirstlane_b32 s22, v11
	v_add_u32_e32 v4, s22, v4
	s_or_b64 s[20:21], s[20:21], exec
	s_or_b64 exec, exec, s[18:19]
	s_and_saveexec_b64 s[18:19], s[20:21]
	s_cbranch_execz .LBB3_139
.LBB3_153:                              ;   in Loop: Header=BB3_140 Depth=1
	v_ashrrev_i32_e32 v5, 31, v4
	v_lshlrev_b64 v[4:5], 2, v[4:5]
	v_mov_b32_e32 v6, s51
	v_add_co_u32_e32 v4, vcc, s50, v4
	v_addc_co_u32_e32 v5, vcc, v6, v5, vcc
	s_waitcnt vmcnt(0)
	global_store_dword v[4:5], v10, off
	s_branch .LBB3_139
.LBB3_154:
	s_or_b64 exec, exec, s[4:5]
	s_cbranch_execz .LBB3_156
	s_branch .LBB3_174
.LBB3_155:
.LBB3_156:
	s_and_saveexec_b64 s[2:3], s[0:1]
	s_cbranch_execz .LBB3_173
; %bb.157:
	s_lshl_b32 s22, -1, s54
	s_mov_b64 s[0:1], 0
	v_mov_b32_e32 v6, s28
	v_bfrev_b32_e32 v7, -2
	v_mov_b32_e32 v8, 0
	v_mov_b32_e32 v3, v0
	s_branch .LBB3_159
.LBB3_158:                              ;   in Loop: Header=BB3_159 Depth=1
	s_or_b64 exec, exec, s[4:5]
	v_add_u32_e32 v3, s52, v3
	v_cmp_le_i32_e32 vcc, s27, v3
	s_or_b64 s[0:1], vcc, s[0:1]
	s_andn2_b64 exec, exec, s[0:1]
	s_cbranch_execz .LBB3_173
.LBB3_159:                              ; =>This Inner Loop Header: Depth=1
	v_ashrrev_i32_e32 v4, 31, v3
	v_lshlrev_b64 v[4:5], 2, v[3:4]
	s_mov_b64 s[6:7], 0
	v_add_co_u32_e32 v4, vcc, s26, v4
	v_addc_co_u32_e32 v5, vcc, v6, v5, vcc
	global_load_dword v4, v[4:5], off
	s_waitcnt vmcnt(0)
	v_cmp_gt_f32_e32 vcc, 0, v4
	v_cndmask_b32_e64 v5, v7, 0, vcc
	v_xor_b32_e32 v4, v5, v4
	v_and_b32_e32 v5, s22, v4
	s_waitcnt lgkmcnt(0)
	v_cmp_ge_u32_e32 vcc, v5, v1
                                        ; implicit-def: $vgpr4
	s_and_saveexec_b64 s[4:5], vcc
	s_xor_b64 s[4:5], exec, s[4:5]
	s_cbranch_execnz .LBB3_162
; %bb.160:                              ;   in Loop: Header=BB3_159 Depth=1
	s_andn2_saveexec_b64 s[4:5], s[4:5]
	s_cbranch_execnz .LBB3_169
.LBB3_161:                              ;   in Loop: Header=BB3_159 Depth=1
	s_or_b64 exec, exec, s[4:5]
	s_and_saveexec_b64 s[4:5], s[6:7]
	s_cbranch_execz .LBB3_158
	s_branch .LBB3_172
.LBB3_162:                              ;   in Loop: Header=BB3_159 Depth=1
	v_cmp_eq_u32_e32 vcc, v5, v1
	s_mov_b64 s[18:19], 0
                                        ; implicit-def: $vgpr4
	s_and_saveexec_b64 s[6:7], vcc
	s_cbranch_execz .LBB3_168
; %bb.163:                              ;   in Loop: Header=BB3_159 Depth=1
	s_mov_b64 s[20:21], exec
	v_mbcnt_lo_u32_b32 v4, s20, 0
	v_mbcnt_hi_u32_b32 v4, s21, v4
	v_cmp_eq_u32_e32 vcc, 0, v4
                                        ; implicit-def: $vgpr5
	s_and_saveexec_b64 s[18:19], vcc
; %bb.164:                              ;   in Loop: Header=BB3_159 Depth=1
	s_bcnt1_i32_b64 s20, s[20:21]
	v_mov_b32_e32 v5, s20
	ds_add_rtn_u32 v5, v8, v5 offset:512
; %bb.165:                              ;   in Loop: Header=BB3_159 Depth=1
	s_or_b64 exec, exec, s[18:19]
	s_waitcnt lgkmcnt(0)
	v_readfirstlane_b32 s18, v5
	v_add_u32_e32 v5, s18, v4
	v_cmp_lt_i32_e32 vcc, v5, v2
	s_mov_b64 s[18:19], 0
                                        ; implicit-def: $vgpr4
	s_and_saveexec_b64 s[20:21], vcc
	s_xor_b64 s[20:21], exec, s[20:21]
; %bb.166:                              ;   in Loop: Header=BB3_159 Depth=1
	s_mov_b64 s[18:19], exec
	v_xad_u32 v4, v5, -1, s33
; %bb.167:                              ;   in Loop: Header=BB3_159 Depth=1
	s_or_b64 exec, exec, s[20:21]
	s_and_b64 s[18:19], s[18:19], exec
.LBB3_168:                              ;   in Loop: Header=BB3_159 Depth=1
	s_or_b64 exec, exec, s[6:7]
	s_and_b64 s[6:7], s[18:19], exec
	s_andn2_saveexec_b64 s[4:5], s[4:5]
	s_cbranch_execz .LBB3_161
.LBB3_169:                              ;   in Loop: Header=BB3_159 Depth=1
	s_mov_b64 s[20:21], exec
	v_mbcnt_lo_u32_b32 v4, s20, 0
	v_mbcnt_hi_u32_b32 v4, s21, v4
	v_cmp_eq_u32_e32 vcc, 0, v4
                                        ; implicit-def: $vgpr5
	s_and_saveexec_b64 s[18:19], vcc
; %bb.170:                              ;   in Loop: Header=BB3_159 Depth=1
	s_bcnt1_i32_b64 s20, s[20:21]
	v_mov_b32_e32 v5, s20
	ds_add_rtn_u32 v5, v8, v5 offset:384
; %bb.171:                              ;   in Loop: Header=BB3_159 Depth=1
	s_or_b64 exec, exec, s[18:19]
	s_waitcnt lgkmcnt(0)
	v_readfirstlane_b32 s18, v5
	v_add_u32_e32 v4, s18, v4
	s_or_b64 s[6:7], s[6:7], exec
	s_or_b64 exec, exec, s[4:5]
	s_and_saveexec_b64 s[4:5], s[6:7]
	s_cbranch_execz .LBB3_158
.LBB3_172:                              ;   in Loop: Header=BB3_159 Depth=1
	v_ashrrev_i32_e32 v5, 31, v4
	v_lshlrev_b64 v[4:5], 2, v[4:5]
	v_mov_b32_e32 v9, s51
	v_add_co_u32_e32 v4, vcc, s50, v4
	v_addc_co_u32_e32 v5, vcc, v9, v5, vcc
	global_store_dword v[4:5], v3, off
	s_branch .LBB3_158
.LBB3_173:
	s_or_b64 exec, exec, s[2:3]
.LBB3_174:
	s_mov_b64 s[0:1], 0
.LBB3_175:
	s_andn2_b64 vcc, exec, s[0:1]
	s_cbranch_vccnz .LBB3_221
; %bb.176:
	s_waitcnt lgkmcnt(0)
	v_mov_b32_e32 v1, 0
	s_xor_b64 s[4:5], s[34:35], -1
	ds_read2_b32 v[2:3], v1 offset1:3
	s_and_b64 s[0:1], s[14:15], exec
	s_cselect_b32 s0, 0, s12
	s_cselect_b32 s1, 0, s13
	s_cmp_eq_u64 s[16:17], 0
	s_cselect_b32 s7, s11, s1
	s_cselect_b32 s6, s10, s0
	;; [unrolled: 1-line block ×5, first 2 shown]
	s_cmp_eq_u64 s[6:7], 0
	v_cmp_gt_i32_e64 s[0:1], s19, v0
	s_cbranch_scc1 .LBB3_199
; %bb.177:
	s_and_saveexec_b64 s[8:9], s[0:1]
	s_cbranch_execz .LBB3_198
; %bb.178:
	s_lshl_b32 s21, -1, s54
	s_mov_b64 s[10:11], 0
	v_mov_b32_e32 v1, s20
	v_mov_b32_e32 v9, 0
	s_waitcnt vmcnt(0)
	v_bfrev_b32_e32 v10, -2
	v_mov_b32_e32 v11, 0x7ff
	v_mov_b32_e32 v4, v0
	s_branch .LBB3_180
.LBB3_179:                              ;   in Loop: Header=BB3_180 Depth=1
	s_or_b64 exec, exec, s[2:3]
	v_add_u32_e32 v4, s52, v4
	v_cmp_le_i32_e32 vcc, s19, v4
	s_or_b64 s[10:11], vcc, s[10:11]
	s_andn2_b64 exec, exec, s[10:11]
	s_cbranch_execz .LBB3_198
.LBB3_180:                              ; =>This Inner Loop Header: Depth=1
	v_ashrrev_i32_e32 v5, 31, v4
	v_lshlrev_b64 v[5:6], 2, v[4:5]
	s_mov_b64 s[12:13], -1
	v_add_co_u32_e32 v7, vcc, s18, v5
	v_addc_co_u32_e32 v8, vcc, v1, v6, vcc
	global_load_dword v7, v[7:8], off
	s_and_b64 vcc, exec, s[4:5]
                                        ; implicit-def: $vgpr8
	s_waitcnt vmcnt(0)
	v_cmp_gt_f32_e64 s[2:3], 0, v7
	s_cbranch_vccz .LBB3_182
; %bb.181:                              ;   in Loop: Header=BB3_180 Depth=1
	v_cndmask_b32_e64 v8, v10, 0, s[2:3]
	v_xor_b32_e32 v8, v8, v7
	v_and_b32_e32 v8, s21, v8
	s_mov_b64 s[12:13], 0
.LBB3_182:                              ;   in Loop: Header=BB3_180 Depth=1
	s_andn2_b64 vcc, exec, s[12:13]
	s_cbranch_vccnz .LBB3_184
; %bb.183:                              ;   in Loop: Header=BB3_180 Depth=1
	v_cndmask_b32_e64 v8, v11, 0, s[2:3]
	v_and_b32_e32 v7, 0x7ff, v7
	v_xor_b32_e32 v8, v8, v7
.LBB3_184:                              ;   in Loop: Header=BB3_180 Depth=1
	s_waitcnt lgkmcnt(0)
	v_cmp_ge_u32_e32 vcc, v8, v3
	s_mov_b64 s[12:13], 0
                                        ; implicit-def: $vgpr12
                                        ; implicit-def: $vgpr7
	s_and_saveexec_b64 s[2:3], vcc
	s_xor_b64 s[2:3], exec, s[2:3]
	s_cbranch_execnz .LBB3_187
; %bb.185:                              ;   in Loop: Header=BB3_180 Depth=1
	s_andn2_saveexec_b64 s[2:3], s[2:3]
	s_cbranch_execnz .LBB3_194
.LBB3_186:                              ;   in Loop: Header=BB3_180 Depth=1
	s_or_b64 exec, exec, s[2:3]
	s_and_saveexec_b64 s[2:3], s[12:13]
	s_cbranch_execz .LBB3_179
	s_branch .LBB3_197
.LBB3_187:                              ;   in Loop: Header=BB3_180 Depth=1
	v_cmp_eq_u32_e32 vcc, v8, v3
	s_mov_b64 s[14:15], 0
                                        ; implicit-def: $vgpr12
                                        ; implicit-def: $vgpr7
	s_and_saveexec_b64 s[12:13], vcc
	s_cbranch_execz .LBB3_193
; %bb.188:                              ;   in Loop: Header=BB3_180 Depth=1
	v_mov_b32_e32 v7, s7
	v_add_co_u32_e32 v5, vcc, s6, v5
	v_addc_co_u32_e32 v6, vcc, v7, v6, vcc
	global_load_dword v12, v[5:6], off
	s_mov_b64 s[14:15], exec
	v_mbcnt_lo_u32_b32 v5, s14, 0
	v_mbcnt_hi_u32_b32 v5, s15, v5
	v_cmp_eq_u32_e32 vcc, 0, v5
                                        ; implicit-def: $vgpr6
	s_and_saveexec_b64 s[16:17], vcc
; %bb.189:                              ;   in Loop: Header=BB3_180 Depth=1
	s_bcnt1_i32_b64 s14, s[14:15]
	v_mov_b32_e32 v6, s14
	ds_add_rtn_u32 v6, v9, v6 offset:512
; %bb.190:                              ;   in Loop: Header=BB3_180 Depth=1
	s_or_b64 exec, exec, s[16:17]
	s_waitcnt lgkmcnt(0)
	v_readfirstlane_b32 s14, v6
	v_add_u32_e32 v5, s14, v5
	v_cmp_lt_i32_e32 vcc, v5, v2
	s_mov_b64 s[14:15], 0
                                        ; implicit-def: $vgpr7
	s_and_saveexec_b64 s[16:17], vcc
	s_xor_b64 s[16:17], exec, s[16:17]
; %bb.191:                              ;   in Loop: Header=BB3_180 Depth=1
	s_mov_b64 s[14:15], exec
	v_xad_u32 v7, v5, -1, s33
; %bb.192:                              ;   in Loop: Header=BB3_180 Depth=1
	s_or_b64 exec, exec, s[16:17]
	s_and_b64 s[14:15], s[14:15], exec
.LBB3_193:                              ;   in Loop: Header=BB3_180 Depth=1
	s_or_b64 exec, exec, s[12:13]
	s_and_b64 s[12:13], s[14:15], exec
                                        ; implicit-def: $vgpr5_vgpr6
	s_andn2_saveexec_b64 s[2:3], s[2:3]
	s_cbranch_execz .LBB3_186
.LBB3_194:                              ;   in Loop: Header=BB3_180 Depth=1
	s_mov_b64 s[16:17], exec
	v_mbcnt_lo_u32_b32 v7, s16, 0
	v_mbcnt_hi_u32_b32 v7, s17, v7
	v_cmp_eq_u32_e32 vcc, 0, v7
                                        ; implicit-def: $vgpr8
	s_and_saveexec_b64 s[14:15], vcc
; %bb.195:                              ;   in Loop: Header=BB3_180 Depth=1
	s_bcnt1_i32_b64 s16, s[16:17]
	v_mov_b32_e32 v8, s16
	ds_add_rtn_u32 v8, v9, v8 offset:384
; %bb.196:                              ;   in Loop: Header=BB3_180 Depth=1
	s_or_b64 exec, exec, s[14:15]
	s_waitcnt vmcnt(0)
	v_mov_b32_e32 v12, s7
	v_add_co_u32_e32 v5, vcc, s6, v5
	v_addc_co_u32_e32 v6, vcc, v12, v6, vcc
	global_load_dword v12, v[5:6], off
	s_waitcnt lgkmcnt(0)
	v_readfirstlane_b32 s14, v8
	v_add_u32_e32 v7, s14, v7
	s_or_b64 s[12:13], s[12:13], exec
	s_or_b64 exec, exec, s[2:3]
	s_and_saveexec_b64 s[2:3], s[12:13]
	s_cbranch_execz .LBB3_179
.LBB3_197:                              ;   in Loop: Header=BB3_180 Depth=1
	v_ashrrev_i32_e32 v8, 31, v7
	v_lshlrev_b64 v[5:6], 2, v[7:8]
	v_mov_b32_e32 v7, s51
	v_add_co_u32_e32 v5, vcc, s50, v5
	v_addc_co_u32_e32 v6, vcc, v7, v6, vcc
	s_waitcnt vmcnt(0)
	global_store_dword v[5:6], v12, off
	s_branch .LBB3_179
.LBB3_198:
	s_or_b64 exec, exec, s[8:9]
	s_cbranch_execz .LBB3_200
	s_branch .LBB3_221
.LBB3_199:
.LBB3_200:
	s_and_saveexec_b64 s[2:3], s[0:1]
	s_cbranch_execz .LBB3_221
; %bb.201:
	s_lshl_b32 s12, -1, s54
	s_mov_b64 s[2:3], 0
	v_mov_b32_e32 v6, s20
	v_mov_b32_e32 v7, 0
	v_bfrev_b32_e32 v8, -2
	v_mov_b32_e32 v9, 0x7ff
	s_branch .LBB3_203
.LBB3_202:                              ;   in Loop: Header=BB3_203 Depth=1
	s_or_b64 exec, exec, s[0:1]
	v_add_u32_e32 v0, s52, v0
	v_cmp_le_i32_e32 vcc, s19, v0
	s_or_b64 s[2:3], vcc, s[2:3]
	s_andn2_b64 exec, exec, s[2:3]
	s_cbranch_execz .LBB3_221
.LBB3_203:                              ; =>This Inner Loop Header: Depth=1
	v_ashrrev_i32_e32 v1, 31, v0
	v_lshlrev_b64 v[4:5], 2, v[0:1]
	s_mov_b64 s[6:7], -1
	v_add_co_u32_e32 v4, vcc, s18, v4
	v_addc_co_u32_e32 v5, vcc, v6, v5, vcc
	global_load_dword v4, v[4:5], off
	s_and_b64 vcc, exec, s[4:5]
                                        ; implicit-def: $vgpr1
	s_waitcnt vmcnt(0)
	v_cmp_gt_f32_e64 s[0:1], 0, v4
	s_cbranch_vccz .LBB3_205
; %bb.204:                              ;   in Loop: Header=BB3_203 Depth=1
	v_cndmask_b32_e64 v1, v8, 0, s[0:1]
	v_xor_b32_e32 v1, v1, v4
	v_and_b32_e32 v1, s12, v1
	s_mov_b64 s[6:7], 0
.LBB3_205:                              ;   in Loop: Header=BB3_203 Depth=1
	s_andn2_b64 vcc, exec, s[6:7]
	s_cbranch_vccnz .LBB3_207
; %bb.206:                              ;   in Loop: Header=BB3_203 Depth=1
	v_cndmask_b32_e64 v1, v9, 0, s[0:1]
	v_and_b32_e32 v4, 0x7ff, v4
	v_xor_b32_e32 v1, v1, v4
.LBB3_207:                              ;   in Loop: Header=BB3_203 Depth=1
	s_waitcnt lgkmcnt(0)
	v_cmp_ge_u32_e32 vcc, v1, v3
	s_mov_b64 s[6:7], 0
                                        ; implicit-def: $vgpr4
	s_and_saveexec_b64 s[0:1], vcc
	s_xor_b64 s[0:1], exec, s[0:1]
	s_cbranch_execnz .LBB3_210
; %bb.208:                              ;   in Loop: Header=BB3_203 Depth=1
	s_andn2_saveexec_b64 s[0:1], s[0:1]
	s_cbranch_execnz .LBB3_217
.LBB3_209:                              ;   in Loop: Header=BB3_203 Depth=1
	s_or_b64 exec, exec, s[0:1]
	s_and_saveexec_b64 s[0:1], s[6:7]
	s_cbranch_execz .LBB3_202
	s_branch .LBB3_220
.LBB3_210:                              ;   in Loop: Header=BB3_203 Depth=1
	v_cmp_eq_u32_e32 vcc, v1, v3
	s_mov_b64 s[8:9], 0
                                        ; implicit-def: $vgpr4
	s_and_saveexec_b64 s[6:7], vcc
	s_cbranch_execz .LBB3_216
; %bb.211:                              ;   in Loop: Header=BB3_203 Depth=1
	s_mov_b64 s[10:11], exec
	v_mbcnt_lo_u32_b32 v1, s10, 0
	v_mbcnt_hi_u32_b32 v1, s11, v1
	v_cmp_eq_u32_e32 vcc, 0, v1
                                        ; implicit-def: $vgpr4
	s_and_saveexec_b64 s[8:9], vcc
; %bb.212:                              ;   in Loop: Header=BB3_203 Depth=1
	s_bcnt1_i32_b64 s10, s[10:11]
	v_mov_b32_e32 v4, s10
	ds_add_rtn_u32 v4, v7, v4 offset:512
; %bb.213:                              ;   in Loop: Header=BB3_203 Depth=1
	s_or_b64 exec, exec, s[8:9]
	s_waitcnt lgkmcnt(0)
	v_readfirstlane_b32 s8, v4
	v_add_u32_e32 v1, s8, v1
	v_cmp_lt_i32_e32 vcc, v1, v2
	s_mov_b64 s[8:9], 0
                                        ; implicit-def: $vgpr4
	s_and_saveexec_b64 s[10:11], vcc
	s_xor_b64 s[10:11], exec, s[10:11]
; %bb.214:                              ;   in Loop: Header=BB3_203 Depth=1
	s_mov_b64 s[8:9], exec
	v_xad_u32 v4, v1, -1, s33
; %bb.215:                              ;   in Loop: Header=BB3_203 Depth=1
	s_or_b64 exec, exec, s[10:11]
	s_and_b64 s[8:9], s[8:9], exec
.LBB3_216:                              ;   in Loop: Header=BB3_203 Depth=1
	s_or_b64 exec, exec, s[6:7]
	s_and_b64 s[6:7], s[8:9], exec
	s_andn2_saveexec_b64 s[0:1], s[0:1]
	s_cbranch_execz .LBB3_209
.LBB3_217:                              ;   in Loop: Header=BB3_203 Depth=1
	s_mov_b64 s[10:11], exec
	v_mbcnt_lo_u32_b32 v1, s10, 0
	v_mbcnt_hi_u32_b32 v1, s11, v1
	v_cmp_eq_u32_e32 vcc, 0, v1
                                        ; implicit-def: $vgpr4
	s_and_saveexec_b64 s[8:9], vcc
; %bb.218:                              ;   in Loop: Header=BB3_203 Depth=1
	s_bcnt1_i32_b64 s10, s[10:11]
	v_mov_b32_e32 v4, s10
	ds_add_rtn_u32 v4, v7, v4 offset:384
; %bb.219:                              ;   in Loop: Header=BB3_203 Depth=1
	s_or_b64 exec, exec, s[8:9]
	s_waitcnt lgkmcnt(0)
	v_readfirstlane_b32 s8, v4
	v_add_u32_e32 v4, s8, v1
	s_or_b64 s[6:7], s[6:7], exec
	s_or_b64 exec, exec, s[0:1]
	s_and_saveexec_b64 s[0:1], s[6:7]
	s_cbranch_execz .LBB3_202
.LBB3_220:                              ;   in Loop: Header=BB3_203 Depth=1
	v_ashrrev_i32_e32 v5, 31, v4
	v_lshlrev_b64 v[4:5], 2, v[4:5]
	v_mov_b32_e32 v1, s51
	v_add_co_u32_e32 v4, vcc, s50, v4
	v_addc_co_u32_e32 v5, vcc, v1, v5, vcc
	global_store_dword v[4:5], v0, off
	s_branch .LBB3_202
.LBB3_221:
	s_endpgm
	.section	.rodata,"a",@progbits
	.p2align	6, 0x0
	.amdhsa_kernel _Z27radix_topk_one_block_kernelIfiLi11ELi1024ELb0ELb0EL5Phase0EEvPKT_PKT0_lS6_S6_S4_PS1_PS4_bPci
		.amdhsa_group_segment_fixed_size 25540
		.amdhsa_private_segment_fixed_size 0
		.amdhsa_kernarg_size 344
		.amdhsa_user_sgpr_count 6
		.amdhsa_user_sgpr_private_segment_buffer 1
		.amdhsa_user_sgpr_dispatch_ptr 0
		.amdhsa_user_sgpr_queue_ptr 0
		.amdhsa_user_sgpr_kernarg_segment_ptr 1
		.amdhsa_user_sgpr_dispatch_id 0
		.amdhsa_user_sgpr_flat_scratch_init 0
		.amdhsa_user_sgpr_private_segment_size 0
		.amdhsa_uses_dynamic_stack 0
		.amdhsa_system_sgpr_private_segment_wavefront_offset 0
		.amdhsa_system_sgpr_workgroup_id_x 1
		.amdhsa_system_sgpr_workgroup_id_y 0
		.amdhsa_system_sgpr_workgroup_id_z 0
		.amdhsa_system_sgpr_workgroup_info 0
		.amdhsa_system_vgpr_workitem_id 0
		.amdhsa_next_free_vgpr 29
		.amdhsa_next_free_sgpr 65
		.amdhsa_reserve_vcc 1
		.amdhsa_reserve_flat_scratch 0
		.amdhsa_float_round_mode_32 0
		.amdhsa_float_round_mode_16_64 0
		.amdhsa_float_denorm_mode_32 3
		.amdhsa_float_denorm_mode_16_64 3
		.amdhsa_dx10_clamp 1
		.amdhsa_ieee_mode 1
		.amdhsa_fp16_overflow 0
		.amdhsa_exception_fp_ieee_invalid_op 0
		.amdhsa_exception_fp_denorm_src 0
		.amdhsa_exception_fp_ieee_div_zero 0
		.amdhsa_exception_fp_ieee_overflow 0
		.amdhsa_exception_fp_ieee_underflow 0
		.amdhsa_exception_fp_ieee_inexact 0
		.amdhsa_exception_int_div_zero 0
	.end_amdhsa_kernel
	.section	.text._Z27radix_topk_one_block_kernelIfiLi11ELi1024ELb0ELb0EL5Phase0EEvPKT_PKT0_lS6_S6_S4_PS1_PS4_bPci,"axG",@progbits,_Z27radix_topk_one_block_kernelIfiLi11ELi1024ELb0ELb0EL5Phase0EEvPKT_PKT0_lS6_S6_S4_PS1_PS4_bPci,comdat
.Lfunc_end3:
	.size	_Z27radix_topk_one_block_kernelIfiLi11ELi1024ELb0ELb0EL5Phase0EEvPKT_PKT0_lS6_S6_S4_PS1_PS4_bPci, .Lfunc_end3-_Z27radix_topk_one_block_kernelIfiLi11ELi1024ELb0ELb0EL5Phase0EEvPKT_PKT0_lS6_S6_S4_PS1_PS4_bPci
                                        ; -- End function
	.set _Z27radix_topk_one_block_kernelIfiLi11ELi1024ELb0ELb0EL5Phase0EEvPKT_PKT0_lS6_S6_S4_PS1_PS4_bPci.num_vgpr, 27
	.set _Z27radix_topk_one_block_kernelIfiLi11ELi1024ELb0ELb0EL5Phase0EEvPKT_PKT0_lS6_S6_S4_PS1_PS4_bPci.num_agpr, 0
	.set _Z27radix_topk_one_block_kernelIfiLi11ELi1024ELb0ELb0EL5Phase0EEvPKT_PKT0_lS6_S6_S4_PS1_PS4_bPci.numbered_sgpr, 65
	.set _Z27radix_topk_one_block_kernelIfiLi11ELi1024ELb0ELb0EL5Phase0EEvPKT_PKT0_lS6_S6_S4_PS1_PS4_bPci.num_named_barrier, 0
	.set _Z27radix_topk_one_block_kernelIfiLi11ELi1024ELb0ELb0EL5Phase0EEvPKT_PKT0_lS6_S6_S4_PS1_PS4_bPci.private_seg_size, 0
	.set _Z27radix_topk_one_block_kernelIfiLi11ELi1024ELb0ELb0EL5Phase0EEvPKT_PKT0_lS6_S6_S4_PS1_PS4_bPci.uses_vcc, 1
	.set _Z27radix_topk_one_block_kernelIfiLi11ELi1024ELb0ELb0EL5Phase0EEvPKT_PKT0_lS6_S6_S4_PS1_PS4_bPci.uses_flat_scratch, 0
	.set _Z27radix_topk_one_block_kernelIfiLi11ELi1024ELb0ELb0EL5Phase0EEvPKT_PKT0_lS6_S6_S4_PS1_PS4_bPci.has_dyn_sized_stack, 0
	.set _Z27radix_topk_one_block_kernelIfiLi11ELi1024ELb0ELb0EL5Phase0EEvPKT_PKT0_lS6_S6_S4_PS1_PS4_bPci.has_recursion, 0
	.set _Z27radix_topk_one_block_kernelIfiLi11ELi1024ELb0ELb0EL5Phase0EEvPKT_PKT0_lS6_S6_S4_PS1_PS4_bPci.has_indirect_call, 0
	.section	.AMDGPU.csdata,"",@progbits
; Kernel info:
; codeLenInByte = 7156
; TotalNumSgprs: 69
; NumVgprs: 27
; ScratchSize: 0
; MemoryBound: 0
; FloatMode: 240
; IeeeMode: 1
; LDSByteSize: 25540 bytes/workgroup (compile time only)
; SGPRBlocks: 8
; VGPRBlocks: 7
; NumSGPRsForWavesPerEU: 69
; NumVGPRsForWavesPerEU: 29
; Occupancy: 8
; WaveLimiterHint : 0
; COMPUTE_PGM_RSRC2:SCRATCH_EN: 0
; COMPUTE_PGM_RSRC2:USER_SGPR: 6
; COMPUTE_PGM_RSRC2:TRAP_HANDLER: 0
; COMPUTE_PGM_RSRC2:TGID_X_EN: 1
; COMPUTE_PGM_RSRC2:TGID_Y_EN: 0
; COMPUTE_PGM_RSRC2:TGID_Z_EN: 0
; COMPUTE_PGM_RSRC2:TIDIG_COMP_CNT: 0
	.section	.AMDGPU.gpr_maximums,"",@progbits
	.set amdgpu.max_num_vgpr, 0
	.set amdgpu.max_num_agpr, 0
	.set amdgpu.max_num_sgpr, 0
	.section	.AMDGPU.csdata,"",@progbits
	.type	__hip_cuid_7535e3ee0065a343,@object ; @__hip_cuid_7535e3ee0065a343
	.section	.bss,"aw",@nobits
	.globl	__hip_cuid_7535e3ee0065a343
__hip_cuid_7535e3ee0065a343:
	.byte	0                               ; 0x0
	.size	__hip_cuid_7535e3ee0065a343, 1

	.ident	"AMD clang version 22.0.0git (https://github.com/RadeonOpenCompute/llvm-project roc-7.2.4 26084 f58b06dce1f9c15707c5f808fd002e18c2accf7e)"
	.section	".note.GNU-stack","",@progbits
	.addrsig
	.addrsig_sym __hip_cuid_7535e3ee0065a343
	.amdgpu_metadata
---
amdhsa.kernels:
  - .args:
      - .address_space:  global
        .offset:         0
        .size:           8
        .value_kind:     global_buffer
      - .offset:         8
        .size:           4
        .value_kind:     by_value
      - .offset:         12
        .size:           4
        .value_kind:     by_value
      - .offset:         16
        .size:           4
        .value_kind:     hidden_block_count_x
      - .offset:         20
        .size:           4
        .value_kind:     hidden_block_count_y
      - .offset:         24
        .size:           4
        .value_kind:     hidden_block_count_z
      - .offset:         28
        .size:           2
        .value_kind:     hidden_group_size_x
      - .offset:         30
        .size:           2
        .value_kind:     hidden_group_size_y
      - .offset:         32
        .size:           2
        .value_kind:     hidden_group_size_z
      - .offset:         34
        .size:           2
        .value_kind:     hidden_remainder_x
      - .offset:         36
        .size:           2
        .value_kind:     hidden_remainder_y
      - .offset:         38
        .size:           2
        .value_kind:     hidden_remainder_z
      - .offset:         56
        .size:           8
        .value_kind:     hidden_global_offset_x
      - .offset:         64
        .size:           8
        .value_kind:     hidden_global_offset_y
      - .offset:         72
        .size:           8
        .value_kind:     hidden_global_offset_z
      - .offset:         80
        .size:           2
        .value_kind:     hidden_grid_dims
    .group_segment_fixed_size: 0
    .kernarg_segment_align: 8
    .kernarg_segment_size: 272
    .language:       OpenCL C
    .language_version:
      - 2
      - 0
    .max_flat_workgroup_size: 1024
    .name:           _Z6init_xPfii
    .private_segment_fixed_size: 0
    .sgpr_count:     11
    .sgpr_spill_count: 0
    .symbol:         _Z6init_xPfii.kd
    .uniform_work_group_size: 1
    .uses_dynamic_stack: false
    .vgpr_count:     7
    .vgpr_spill_count: 0
    .wavefront_size: 64
  - .args:
      - .address_space:  global
        .offset:         0
        .size:           8
        .value_kind:     global_buffer
      - .offset:         8
        .size:           4
        .value_kind:     by_value
      - .offset:         12
        .size:           4
        .value_kind:     by_value
      - .offset:         16
        .size:           4
        .value_kind:     by_value
    .group_segment_fixed_size: 0
    .kernarg_segment_align: 8
    .kernarg_segment_size: 20
    .language:       OpenCL C
    .language_version:
      - 2
      - 0
    .max_flat_workgroup_size: 1024
    .name:           _Z12shuffle_rowsPfiij
    .private_segment_fixed_size: 0
    .sgpr_count:     18
    .sgpr_spill_count: 0
    .symbol:         _Z12shuffle_rowsPfiij.kd
    .uniform_work_group_size: 1
    .uses_dynamic_stack: false
    .vgpr_count:     3
    .vgpr_spill_count: 0
    .wavefront_size: 64
  - .args:
      - .address_space:  global
        .offset:         0
        .size:           8
        .value_kind:     global_buffer
      - .address_space:  global
        .offset:         8
        .size:           8
        .value_kind:     global_buffer
      - .offset:         16
        .size:           8
        .value_kind:     by_value
      - .address_space:  global
        .offset:         24
        .size:           8
        .value_kind:     global_buffer
      - .address_space:  global
        .offset:         32
        .size:           8
        .value_kind:     global_buffer
      - .offset:         40
        .size:           4
        .value_kind:     by_value
      - .address_space:  global
        .offset:         48
        .size:           8
        .value_kind:     global_buffer
      - .address_space:  global
        .offset:         56
        .size:           8
        .value_kind:     global_buffer
      - .offset:         64
        .size:           1
        .value_kind:     by_value
      - .address_space:  global
        .offset:         72
        .size:           8
        .value_kind:     global_buffer
      - .offset:         80
        .size:           4
        .value_kind:     by_value
      - .offset:         88
        .size:           4
        .value_kind:     hidden_block_count_x
      - .offset:         92
        .size:           4
        .value_kind:     hidden_block_count_y
      - .offset:         96
        .size:           4
        .value_kind:     hidden_block_count_z
      - .offset:         100
        .size:           2
        .value_kind:     hidden_group_size_x
      - .offset:         102
        .size:           2
        .value_kind:     hidden_group_size_y
      - .offset:         104
        .size:           2
        .value_kind:     hidden_group_size_z
      - .offset:         106
        .size:           2
        .value_kind:     hidden_remainder_x
      - .offset:         108
        .size:           2
        .value_kind:     hidden_remainder_y
      - .offset:         110
        .size:           2
        .value_kind:     hidden_remainder_z
      - .offset:         128
        .size:           8
        .value_kind:     hidden_global_offset_x
      - .offset:         136
        .size:           8
        .value_kind:     hidden_global_offset_y
      - .offset:         144
        .size:           8
        .value_kind:     hidden_global_offset_z
      - .offset:         152
        .size:           2
        .value_kind:     hidden_grid_dims
    .group_segment_fixed_size: 25540
    .kernarg_segment_align: 8
    .kernarg_segment_size: 344
    .language:       OpenCL C
    .language_version:
      - 2
      - 0
    .max_flat_workgroup_size: 1024
    .name:           _Z27radix_topk_one_block_kernelIfiLi11ELi1024ELb1ELb0EL5Phase0EEvPKT_PKT0_lS6_S6_S4_PS1_PS4_bPci
    .private_segment_fixed_size: 0
    .sgpr_count:     71
    .sgpr_spill_count: 0
    .symbol:         _Z27radix_topk_one_block_kernelIfiLi11ELi1024ELb1ELb0EL5Phase0EEvPKT_PKT0_lS6_S6_S4_PS1_PS4_bPci.kd
    .uniform_work_group_size: 1
    .uses_dynamic_stack: false
    .vgpr_count:     27
    .vgpr_spill_count: 0
    .wavefront_size: 64
  - .args:
      - .address_space:  global
        .offset:         0
        .size:           8
        .value_kind:     global_buffer
      - .address_space:  global
        .offset:         8
        .size:           8
        .value_kind:     global_buffer
      - .offset:         16
        .size:           8
        .value_kind:     by_value
      - .address_space:  global
        .offset:         24
        .size:           8
        .value_kind:     global_buffer
      - .address_space:  global
        .offset:         32
        .size:           8
        .value_kind:     global_buffer
      - .offset:         40
        .size:           4
        .value_kind:     by_value
      - .address_space:  global
        .offset:         48
        .size:           8
        .value_kind:     global_buffer
      - .address_space:  global
        .offset:         56
        .size:           8
        .value_kind:     global_buffer
      - .offset:         64
        .size:           1
        .value_kind:     by_value
      - .address_space:  global
        .offset:         72
        .size:           8
        .value_kind:     global_buffer
      - .offset:         80
        .size:           4
        .value_kind:     by_value
      - .offset:         88
        .size:           4
        .value_kind:     hidden_block_count_x
      - .offset:         92
        .size:           4
        .value_kind:     hidden_block_count_y
      - .offset:         96
        .size:           4
        .value_kind:     hidden_block_count_z
      - .offset:         100
        .size:           2
        .value_kind:     hidden_group_size_x
      - .offset:         102
        .size:           2
        .value_kind:     hidden_group_size_y
      - .offset:         104
        .size:           2
        .value_kind:     hidden_group_size_z
      - .offset:         106
        .size:           2
        .value_kind:     hidden_remainder_x
      - .offset:         108
        .size:           2
        .value_kind:     hidden_remainder_y
      - .offset:         110
        .size:           2
        .value_kind:     hidden_remainder_z
      - .offset:         128
        .size:           8
        .value_kind:     hidden_global_offset_x
      - .offset:         136
        .size:           8
        .value_kind:     hidden_global_offset_y
      - .offset:         144
        .size:           8
        .value_kind:     hidden_global_offset_z
      - .offset:         152
        .size:           2
        .value_kind:     hidden_grid_dims
    .group_segment_fixed_size: 25540
    .kernarg_segment_align: 8
    .kernarg_segment_size: 344
    .language:       OpenCL C
    .language_version:
      - 2
      - 0
    .max_flat_workgroup_size: 1024
    .name:           _Z27radix_topk_one_block_kernelIfiLi11ELi1024ELb0ELb0EL5Phase0EEvPKT_PKT0_lS6_S6_S4_PS1_PS4_bPci
    .private_segment_fixed_size: 0
    .sgpr_count:     69
    .sgpr_spill_count: 0
    .symbol:         _Z27radix_topk_one_block_kernelIfiLi11ELi1024ELb0ELb0EL5Phase0EEvPKT_PKT0_lS6_S6_S4_PS1_PS4_bPci.kd
    .uniform_work_group_size: 1
    .uses_dynamic_stack: false
    .vgpr_count:     27
    .vgpr_spill_count: 0
    .wavefront_size: 64
amdhsa.target:   amdgcn-amd-amdhsa--gfx906
amdhsa.version:
  - 1
  - 2
...

	.end_amdgpu_metadata
